;; amdgpu-corpus repo=ROCm/aiter kind=harvested arch=n/a opt=n/a

/root/src/amdgpu-assembly/repos/ROCm__aiter/hsa/gfx950/mla/mla_a8w8_qh32_qseqlen4_gqaratio8_lse_ps.co:	file format elf64-amdgpu

Disassembly of section .text:

0000000000002400 <_ZN5aiter39mla_a8w8_qh32_qseqlen4_gqaratio8_lse_psE>:
	s_and_b32 s1, s1, 0xffff                                   // 000000002400: 8601FF01 0000FFFF
	s_load_dwordx2 s[28:29], s[0:1], 0xe0                      // 000000002408: C0060700 000000E0
	v_lshrrev_b32_e32 v1, 10, v0                               // 000000002410: 2002008A
	v_lshrrev_b32_e32 v2, 10, v1                               // 000000002414: 2004028A
	v_and_b32_e32 v2, 0x3ff, v2                                // 000000002418: 260404FF 000003FF
	v_and_b32_e32 v1, 0x3ff, v1                                // 000000002420: 260202FF 000003FF
	v_and_b32_e32 v0, 0x3ff, v0                                // 000000002428: 260000FF 000003FF
	v_lshrrev_b32_e32 v3, 6, v0                                // 000000002430: 20060086
	v_and_b32_e32 v0, 63, v0                                   // 000000002434: 260000BF
	s_mov_b32 s2, s2                                           // 000000002438: BE820002
	s_mov_b32 s3, s3                                           // 00000000243C: BE830003
	s_mov_b32 s4, s4                                           // 000000002440: BE840004
	v_readfirstlane_b32 s7, v3                                 // 000000002444: 7E0E0503
	s_waitcnt lgkmcnt(0)                                       // 000000002448: BF8CC07F
	s_and_b32 s29, s29, 0xffff                                 // 00000000244C: 861DFF1D 0000FFFF
	s_load_dwordx2 s[32:33], s[28:29], 0x0                     // 000000002454: C006080E 00000000
	s_load_dwordx2 s[30:31], s[28:29], 0x8                     // 00000000245C: C006078E 00000008
	s_waitcnt lgkmcnt(0)                                       // 000000002464: BF8CC07F
	s_mul_i32 s56, s2, 4                                       // 000000002468: 92388402
	s_and_b32 s33, s33, 0xffff                                 // 00000000246C: 8621FF21 0000FFFF
	s_add_u32 s32, s56, s32                                    // 000000002474: 80202038
	s_addc_u32 s33, 0, s33                                     // 000000002478: 82212180
	s_load_dword s85, s[32:33], 0x0                            // 00000000247C: C0021550 00000000
	s_load_dword s86, s[32:33], 0x4                            // 000000002484: C0021590 00000004
	s_and_b32 s31, s31, 0xffff                                 // 00000000248C: 861FFF1F 0000FFFF
	s_waitcnt lgkmcnt(0)                                       // 000000002494: BF8CC07F
	s_cmp_eq_i32 s85, s86                                      // 000000002498: BF005655
	s_cbranch_scc1 label_9468                                  // 00000000249C: BF8524F2
	s_mul_i32 s56, s85, 32                                     // 0000000024A0: 9238A055

00000000000024a4 <label_00A4>:
	s_waitcnt vmcnt(0) expcnt(0) lgkmcnt(0)                    // 0000000024A4: BF8C0000
	s_barrier                                                  // 0000000024A8: BF8A0000
	s_add_u32 s30, s56, s30                                    // 0000000024AC: 801E1E38
	s_addc_u32 s31, 0, s31                                     // 0000000024B0: 821F1F80
	s_load_dword s87, s[30:31], 0x4                            // 0000000024B4: C00215CF 00000004
	s_load_dword s79, s[30:31], 0x8                            // 0000000024BC: C00213CF 00000008
	s_load_dword s78, s[30:31], 0xc                            // 0000000024C4: C002138F 0000000C
	s_load_dword s47, s[30:31], 0x10                           // 0000000024CC: C0020BCF 00000010
	s_load_dword s46, s[30:31], 0x14                           // 0000000024D4: C0020B8F 00000014
	s_load_dword s77, s[30:31], 0x18                           // 0000000024DC: C002134F 00000018
	s_load_dwordx2 s[8:9], s[0:1], 0x0                         // 0000000024E4: C0060200 00000000
	s_load_dwordx2 s[12:13], s[0:1], 0x10                      // 0000000024EC: C0060300 00000010
	s_load_dwordx2 s[16:17], s[0:1], 0x20                      // 0000000024F4: C0060400 00000020
	s_load_dwordx2 s[20:21], s[0:1], 0x30                      // 0000000024FC: C0060500 00000030
	s_load_dwordx2 s[24:25], s[0:1], 0x50                      // 000000002504: C0060600 00000050
	s_load_dword s64, s[0:1], 0x70                             // 00000000250C: C0021000 00000070
	s_load_dword s65, s[0:1], 0x80                             // 000000002514: C0021040 00000080
	s_load_dword s67, s[0:1], 0x90                             // 00000000251C: C00210C0 00000090
	s_load_dword s66, s[0:1], 0xa0                             // 000000002524: C0021080 000000A0
	s_load_dword s68, s[0:1], 0xb0                             // 00000000252C: C0021100 000000B0
	s_load_dword s69, s[0:1], 0xc0                             // 000000002534: C0021140 000000C0
	s_load_dwordx2 s[88:89], s[0:1], 0xf0                      // 00000000253C: C0061600 000000F0
	s_load_dwordx2 s[96:97], s[0:1], 0x130                     // 000000002544: C0061800 00000130
	s_load_dwordx2 s[40:41], s[0:1], 0x100                     // 00000000254C: C0060A00 00000100
	s_load_dwordx2 s[42:43], s[0:1], 0x110                     // 000000002554: C0060A80 00000110
	s_waitcnt lgkmcnt(0)                                       // 00000000255C: BF8CC07F
	s_sub_u32 s81, s78, s79                                    // 000000002560: 80D14F4E
	s_mul_i32 s74, 0x240, s65                                  // 000000002564: 924A41FF 00000240
	s_mul_i32 s56, 4, s65                                      // 00000000256C: 92384184
	s_mov_b32 s10, s75                                         // 000000002570: BE8A004B
	s_mov_b32 s18, s74                                         // 000000002574: BE92004A
	s_mov_b32 s14, s56                                         // 000000002578: BE8E0038
	s_mov_b32 s98, s56                                         // 00000000257C: BEE20038
	s_mov_b32 s22, -16                                         // 000000002580: BE9600D0
	s_mov_b32 s26, -16                                         // 000000002584: BE9A00D0
	s_mov_b32 s11, 0x20000                                     // 000000002588: BE8B00FF 00020000
	s_mov_b32 s91, 0x20000                                     // 000000002590: BEDB00FF 00020000
	s_mov_b32 s19, 0x20000                                     // 000000002598: BE9300FF 00020000
	s_mov_b32 s15, 0x20000                                     // 0000000025A0: BE8F00FF 00020000
	s_mov_b32 s99, 0x20000                                     // 0000000025A8: BEE300FF 00020000
	s_mov_b32 s23, 0x20000                                     // 0000000025B0: BE9700FF 00020000
	s_mov_b32 s27, 0x20000                                     // 0000000025B8: BE9B00FF 00020000
	s_and_b32 s9, s9, 0xffff                                   // 0000000025C0: 8609FF09 0000FFFF
	s_and_b32 s89, s89, 0xffff                                 // 0000000025C8: 8659FF59 0000FFFF
	s_and_b32 s17, s17, 0xffff                                 // 0000000025D0: 8611FF11 0000FFFF
	s_and_b32 s13, s13, 0xffff                                 // 0000000025D8: 860DFF0D 0000FFFF
	s_and_b32 s97, s97, 0xffff                                 // 0000000025E0: 8661FF61 0000FFFF
	s_and_b32 s21, s21, 0xffff                                 // 0000000025E8: 8615FF15 0000FFFF
	s_and_b32 s25, s25, 0xffff                                 // 0000000025F0: 8619FF19 0000FFFF
	s_and_b32 s41, s41, 0xffff                                 // 0000000025F8: 8629FF29 0000FFFF
	s_and_b32 s43, s43, 0xffff                                 // 000000002600: 862BFF2B 0000FFFF
	s_or_b32 s9, s9, 0x40000                                   // 000000002608: 8709FF09 00040000
	s_or_b32 s89, s89, 0x40000                                 // 000000002610: 8759FF59 00040000
	s_or_b32 s17, s17, 0x40000                                 // 000000002618: 8711FF11 00040000
	s_or_b32 s13, s13, 0x40000                                 // 000000002620: 870DFF0D 00040000
	s_or_b32 s97, s97, 0x40000                                 // 000000002628: 8761FF61 00040000
	s_or_b32 s21, s21, 0x40000                                 // 000000002630: 8715FF15 00040000
	s_or_b32 s25, s25, 0x40000                                 // 000000002638: 8719FF19 00040000
	s_mov_b32 s67, 1                                           // 000000002640: BEC30081
	s_mov_b32 s80, 0                                           // 000000002644: BED00080
	s_waitcnt lgkmcnt(0)                                       // 000000002648: BF8CC07F
	s_load_dword s60, s[40:41], 0x0                            // 00000000264C: C0020F14 00000000
	s_load_dword s61, s[42:43], 0x0                            // 000000002654: C0020F55 00000000
	s_mov_b32 s69, 0                                           // 00000000265C: BEC50080
	s_lshr_b32 s44, 64, s69                                    // 000000002660: 8F2C45C0
	s_mul_i32 s73, s44, 4                                      // 000000002664: 9249842C
	s_mul_i32 s73, s73, s67                                    // 000000002668: 92494349
	s_mul_i32 s45, s4, s44                                     // 00000000266C: 922D2C04
	s_sub_u32 s50, s46, s47                                    // 000000002670: 80B22F2E
	s_sub_i32 s82, s50, s81                                    // 000000002674: 81D25132
	s_mov_b32 s56, s77                                         // 000000002678: BEB8004D
	s_add_u32 s82, s56, s82                                    // 00000000267C: 80525238
	s_mov_b32 s84, 64                                          // 000000002680: BED400C0
	s_cmp_le_u32 s50, s45                                      // 000000002684: BF0B2D32
	s_cbranch_scc1 label_9468                                  // 000000002688: BF852477
	s_mul_i32 s56, s50, 4                                      // 00000000268C: 92388432
	s_mov_b32 s26, s56                                         // 000000002690: BE9A0038
	s_mul_i32 s56, s47, 4                                      // 000000002694: 9238842F
	s_add_u32 s24, s56, s24                                    // 000000002698: 80181838
	s_addc_u32 s25, 0, s25                                     // 00000000269C: 82191980
	s_mov_b32 s70, 0                                           // 0000000026A0: BEC60080
	s_sub_u32 s71, s50, s45                                    // 0000000026A4: 80C72D32
	s_mul_i32 s37, s67, s44                                    // 0000000026A8: 92252C43
	s_mov_b32 s36, s71                                         // 0000000026AC: BEA40047
	v_cvt_f32_u32_e32 v35, s37                                 // 0000000026B0: 7E460C25
	s_sub_i32 s56, 0, s37                                      // 0000000026B4: 81B82580
	v_rcp_iflag_f32_e32 v35, v35                               // 0000000026B8: 7E464723
	s_nop 0                                                    // 0000000026BC: BF800000
	v_mul_f32_e32 v35, 0x4f7ffffe, v35                         // 0000000026C0: 0A4646FF 4F7FFFFE
	v_cvt_u32_f32_e32 v35, v35                                 // 0000000026C8: 7E460F23
	v_mul_lo_u32 v36, s56, v35                                 // 0000000026CC: D2850024 00024638
	v_mul_hi_u32 v36, v35, v36                                 // 0000000026D4: D2860024 00024923
	v_add_u32_e32 v35, v35, v36                                // 0000000026DC: 68464923
	v_mul_hi_u32 v35, s36, v35                                 // 0000000026E0: D2860023 00024624
	v_mul_lo_u32 v36, v35, s37                                 // 0000000026E8: D2850024 00004B23
	v_sub_u32_e32 v38, s36, v36                                // 0000000026F0: 6A4C4824
	v_add_u32_e32 v37, 1, v35                                  // 0000000026F4: 684A4681
	v_cmp_le_u32_e32 vcc, s37, v38                             // 0000000026F8: 7D964C25
	v_subrev_u32_e32 v36, s37, v38                             // 0000000026FC: 6C484C25
	s_nop 0                                                    // 000000002700: BF800000
	v_cndmask_b32_e32 v35, v35, v37, vcc                       // 000000002704: 00464B23
	v_cndmask_b32_e32 v38, v38, v36, vcc                       // 000000002708: 004C4926
	v_add_u32_e32 v36, 1, v35                                  // 00000000270C: 68484681
	v_cmp_le_u32_e32 vcc, s37, v38                             // 000000002710: 7D964C25
	s_nop 1                                                    // 000000002714: BF800001
	v_cndmask_b32_e32 v38, v35, v36, vcc                       // 000000002718: 004C4923
	s_nop 3                                                    // 00000000271C: BF800003
	v_readfirstlane_b32 s38, v38                               // 000000002720: 7E4C0526
	s_nop 3                                                    // 000000002724: BF800003
	s_mov_b32 s71, s38                                         // 000000002728: BEC70026
	s_mul_i32 s56, s71, s37                                    // 00000000272C: 92382547
	s_sub_u32 s56, s36, s56                                    // 000000002730: 80B83824
	s_mov_b32 s57, 0                                           // 000000002734: BEB90080
	s_cmp_lt_u32 s56, s44                                      // 000000002738: BF0A2C38
	s_cselect_b32 s57, s57, 1                                  // 00000000273C: 85398139
	s_add_u32 s71, s57, s71                                    // 000000002740: 80474739
	s_cmpk_eq_u32 s57, 0x1                                     // 000000002744: B4390001
	s_cselect_b32 s49, 0, s56                                  // 000000002748: 85313880
	s_mov_b32 s48, s49                                         // 00000000274C: BEB00031
	v_lshrrev_b32_e32 v35, 2, v0                               // 000000002750: 20460082
	s_mul_i32 s56, s7, 16                                      // 000000002754: 92389007
	v_add_u32_e64 v34, v35, s56                                // 000000002758: D1340022 00007123
	v_add_u32_e32 v34, s45, v34                                // 000000002760: 6844442D
	v_lshlrev_b32_e32 v34, 2, v34                              // 000000002764: 24444482
	buffer_load_dword v30, v34, s[24:27], 0 offen              // 000000002768: E0501000 80061E22
	v_add_u32_e32 v34, s73, v34                                // 000000002770: 68444449
	buffer_load_dword v31, v34, s[24:27], 0 offen              // 000000002774: E0501000 80061F22
	v_add_u32_e32 v34, s73, v34                                // 00000000277C: 68444449
	s_mul_i32 s56, 0x240, 8                                    // 000000002780: 923888FF 00000240
	s_mul_i32 s56, s79, s56                                    // 000000002788: 9238384F
	s_add_u32 s16, s56, s16                                    // 00000000278C: 80101038
	s_addc_u32 s17, 0, s17                                     // 000000002790: 82111180
	s_mul_i32 s56, s7, 0x400                                   // 000000002794: 9238FF07 00000400
	s_add_u32 m0, 0x2000, s56                                  // 00000000279C: 807C38FF 00002000
	v_and_b32_e32 v35, 3, v0                                   // 0000000027A4: 26460083
	v_mov_b32_e32 v36, 0                                       // 0000000027A8: 7E480280
	s_mov_b32 s56, 0                                           // 0000000027AC: BEB80080
	s_mov_b32 s57, -1                                          // 0000000027B0: BEB900C1
	v_cndmask_b32_e64 v37, v36, v35, s[56:57]                  // 0000000027B4: D1000025 00E24724
	s_nop 2                                                    // 0000000027BC: BF800002
	v_mov_b32_dpp v37, v37 quad_perm:[2,3,0,1] row_mask:0xf bank_mask:0xf// 0000000027C0: 7E4A02FA FF004E25
	v_cndmask_b32_e64 v38, v35, v37, s[56:57]                  // 0000000027C8: D1000026 00E24B23
	v_lshlrev_b32_e32 v38, 4, v38                              // 0000000027D0: 244C4C84
	v_mov_b32_e32 v1, v38                                      // 0000000027D4: 7E020326
	v_lshrrev_b32_e32 v35, 2, v0                               // 0000000027D8: 20460082
	s_mov_b32 s56, 0x240                                       // 0000000027DC: BEB800FF 00000240
	v_mul_i32_i24_e64 v35, v35, s56                            // 0000000027E4: D1060023 00007123
	s_mul_i32 s56, s7, 64                                      // 0000000027EC: 9238C007
	v_add_u32_e32 v36, v35, v38                                // 0000000027F0: 68484D23
	v_add_u32_e64 v36, v36, s56                                // 0000000027F4: D1340024 00007124
	buffer_load_dwordx4 v36, s[16:19], 0 offen lds             // 0000000027FC: E05D1000 80040024
	s_add_u32 m0, m0, 0x1000                                   // 000000002804: 807CFF7C 00001000
	v_add_u32_e32 v36, 0x100, v36                              // 00000000280C: 684848FF 00000100
	buffer_load_dwordx4 v36, s[16:19], 0 offen lds             // 000000002814: E05D1000 80040024
	s_add_u32 m0, m0, 0x1000                                   // 00000000281C: 807CFF7C 00001000
	v_add_u32_e32 v36, 0x100, v36                              // 000000002824: 684848FF 00000100
	buffer_load_dwordx4 v36, s[16:19], 0 offen lds             // 00000000282C: E05D1000 80040024
	s_add_u32 m0, m0, 0x1000                                   // 000000002834: 807CFF7C 00001000
	v_add_u32_e32 v36, 0x100, v36                              // 00000000283C: 684848FF 00000100
	v_add_u32_e32 v36, 0x2100, v36                             // 000000002844: 684848FF 00002100
	buffer_load_dwordx4 v36, s[16:19], 0 offen lds             // 00000000284C: E05D1000 80040024
	s_add_u32 m0, m0, 0x1000                                   // 000000002854: 807CFF7C 00001000
	v_add_u32_e32 v36, 0x100, v36                              // 00000000285C: 684848FF 00000100
	buffer_load_dwordx4 v36, s[16:19], 0 offen lds             // 000000002864: E05D1000 80040024
	s_add_u32 m0, m0, 0x1000                                   // 00000000286C: 807CFF7C 00001000
	v_add_u32_e32 v36, 0x100, v36                              // 000000002874: 684848FF 00000100
	buffer_load_dwordx4 v36, s[16:19], 0 offen lds             // 00000000287C: E05D1000 80040024
	s_add_u32 m0, m0, 0x1000                                   // 000000002884: 807CFF7C 00001000
	v_add_u32_e32 v36, 0x100, v36                              // 00000000288C: 684848FF 00000100
	v_add_u32_e32 v36, 0x2100, v36                             // 000000002894: 684848FF 00002100
	buffer_load_dwordx4 v36, s[16:19], 0 offen lds             // 00000000289C: E05D1000 80040024
	s_add_u32 m0, m0, 0x1000                                   // 0000000028A4: 807CFF7C 00001000
	v_add_u32_e32 v36, 0x100, v36                              // 0000000028AC: 684848FF 00000100
	buffer_load_dwordx4 v36, s[16:19], 0 offen lds             // 0000000028B4: E05D1000 80040024
	s_add_u32 m0, m0, 0x1000                                   // 0000000028BC: 807CFF7C 00001000
	v_add_u32_e32 v36, 0x100, v36                              // 0000000028C4: 684848FF 00000100
	buffer_load_dwordx4 v36, s[16:19], 0 offen lds             // 0000000028CC: E05D1000 80040024
	s_add_u32 m0, m0, 0x1000                                   // 0000000028D4: 807CFF7C 00001000
	v_add_u32_e32 v36, 0x100, v36                              // 0000000028DC: 684848FF 00000100
	v_add_u32_e32 v36, 0x2100, v36                             // 0000000028E4: 684848FF 00002100
	buffer_load_dwordx4 v36, s[16:19], 0 offen lds             // 0000000028EC: E05D1000 80040024
	s_add_u32 m0, m0, 0x1000                                   // 0000000028F4: 807CFF7C 00001000
	v_add_u32_e32 v36, 0x100, v36                              // 0000000028FC: 684848FF 00000100
	buffer_load_dwordx4 v36, s[16:19], 0 offen lds             // 000000002904: E05D1000 80040024
	s_add_u32 m0, m0, 0x1000                                   // 00000000290C: 807CFF7C 00001000
	v_add_u32_e32 v36, 0x100, v36                              // 000000002914: 684848FF 00000100
	buffer_load_dwordx4 v36, s[16:19], 0 offen lds             // 00000000291C: E05D1000 80040024
	s_add_u32 m0, m0, 0x1000                                   // 000000002924: 807CFF7C 00001000
	v_add_u32_e32 v36, 0x100, v36                              // 00000000292C: 684848FF 00000100
	v_add_u32_e32 v36, 0x2100, v36                             // 000000002934: 684848FF 00002100
	s_mov_b32 s52, 0x7060302                                   // 00000000293C: BEB400FF 07060302
	s_mov_b32 s53, 0x5040100                                   // 000000002944: BEB500FF 05040100
	s_mul_i32 s51, s7, 4                                       // 00000000294C: 92338407
	s_mov_b32 s6, 0x3fb8aa3b                                   // 000000002950: BE8600FF 3FB8AA3B
	v_mov_b32_e32 v36, s6                                      // 000000002958: 7E480206
	v_mov_b32_e32 v35, s64                                     // 00000000295C: 7E460240
	v_mul_f32_e32 v35, s6, v35                                 // 000000002960: 0A464606
	v_rcp_f32_e32 v36, v36                                     // 000000002964: 7E484524
	v_mov_b32_e32 v2, 0xff800000                               // 000000002968: 7E0402FF FF800000
	v_mov_b32_e32 v21, 0                                       // 000000002970: 7E2A0280
	v_mov_b32_e32 v4, 0                                        // 000000002974: 7E080280
	v_readfirstlane_b32 s5, v35                                // 000000002978: 7E0A0523
	v_readfirstlane_b32 s63, v36                               // 00000000297C: 7E7E0524
	s_waitcnt lgkmcnt(0)                                       // 000000002980: BF8CC07F
	v_mov_b32_e32 v35, s60                                     // 000000002984: 7E46023C
	v_mul_f32_e32 v35, s61, v35                                // 000000002988: 0A46463D
	v_mul_f32_e32 v36, s5, v35                                 // 00000000298C: 0A484605
	v_mul_f32_e32 v38, s64, v35                                // 000000002990: 0A4C4640
	v_readfirstlane_b32 s5, v36                                // 000000002994: 7E0A0524
	v_readfirstlane_b32 s64, v38                               // 000000002998: 7E800526
	v_and_b32_e32 v35, 15, v0                                  // 00000000299C: 2646008F
	v_lshlrev_b32_e32 v35, 4, v35                              // 0000000029A0: 24464684
	v_and_b32_e32 v36, 31, v0                                  // 0000000029A4: 2648009F
	v_lshrrev_b32_e32 v36, 4, v36                              // 0000000029A8: 20484884
	s_mov_b32 s56, 0xc00                                       // 0000000029AC: BEB800FF 00000C00
	v_mul_i32_i24_e32 v36, s56, v36                            // 0000000029B4: 0C484838
	v_add_u32_e32 v222, v35, v36                               // 0000000029B8: 69BC4923
	v_mov_b32_e32 v223, v222                                   // 0000000029BC: 7FBE03DE
	v_and_b32_e32 v35, 15, v0                                  // 0000000029C0: 2646008F
	v_lshrrev_b32_e32 v35, 3, v35                              // 0000000029C4: 20464683
	v_lshlrev_b32_e32 v35, 3, v35                              // 0000000029C8: 24464683
	v_lshrrev_b32_e32 v36, 5, v0                               // 0000000029CC: 20480085
	v_lshlrev_b32_e32 v36, 2, v36                              // 0000000029D0: 24484882
	v_add_u32_e32 v222, v222, v35                              // 0000000029D4: 69BC47DE
	v_add_u32_e32 v222, v222, v36                              // 0000000029D8: 69BC49DE
	v_and_b32_e32 v35, 15, v0                                  // 0000000029DC: 2646008F
	v_lshrrev_b32_e32 v35, 3, v35                              // 0000000029E0: 20464683
	s_mov_b32 s56, 1                                           // 0000000029E4: BEB80081
	v_mov_b32_e32 v36, s56                                     // 0000000029E8: 7E480238
	v_xor_b32_e32 v35, v36, v35                                // 0000000029EC: 2A464724
	v_lshlrev_b32_e32 v35, 3, v35                              // 0000000029F0: 24464683
	v_lshrrev_b32_e32 v36, 5, v0                               // 0000000029F4: 20480085
	v_lshlrev_b32_e32 v36, 2, v36                              // 0000000029F8: 24484882
	v_add_u32_e32 v223, v223, v35                              // 0000000029FC: 69BE47DF
	v_add_u32_e32 v223, v223, v36                              // 000000002A00: 69BE49DF
	s_mov_b32 s56, 0                                           // 000000002A04: BEB80080
	v_lshlrev_b32_e32 v222, 2, v222                            // 000000002A08: 25BDBC82
	v_lshlrev_b32_e32 v223, 2, v223                            // 000000002A0C: 25BFBE82
	s_lshr_b32 s57, s7, 1                                      // 000000002A10: 8F398107
	s_mul_i32 s56, s57, 0x6000                                 // 000000002A14: 9238FF39 00006000
	v_add_u32_e32 v222, s56, v222                              // 000000002A1C: 69BDBC38
	v_add_u32_e32 v223, s56, v223                              // 000000002A20: 69BFBE38
	s_waitcnt vmcnt(0)                                         // 000000002A24: BF8C0F70
	s_barrier                                                  // 000000002A28: BF8A0000
	ds_read_b128 a[0:3], v222 offset:8192                      // 000000002A2C: DBFE2000 000000DE
	ds_read_b128 a[8:11], v222 offset:9216                     // 000000002A34: DBFE2400 080000DE
	ds_read_b128 a[16:19], v222 offset:10240                   // 000000002A3C: DBFE2800 100000DE
	ds_read_b128 a[24:27], v222 offset:11264                   // 000000002A44: DBFE2C00 180000DE
	ds_read_b128 a[32:35], v222 offset:12288                   // 000000002A4C: DBFE3000 200000DE
	ds_read_b128 a[40:43], v222 offset:13312                   // 000000002A54: DBFE3400 280000DE
	ds_read_b128 a[48:51], v222 offset:14336                   // 000000002A5C: DBFE3800 300000DE
	ds_read_b128 a[56:59], v222 offset:15360                   // 000000002A64: DBFE3C00 380000DE
	ds_read_b128 a[64:67], v222 offset:16384                   // 000000002A6C: DBFE4000 400000DE
	ds_read_b128 a[4:7], v223 offset:8192                      // 000000002A74: DBFE2000 040000DF
	ds_read_b128 a[12:15], v223 offset:9216                    // 000000002A7C: DBFE2400 0C0000DF
	ds_read_b128 a[20:23], v223 offset:10240                   // 000000002A84: DBFE2800 140000DF
	ds_read_b128 a[28:31], v223 offset:11264                   // 000000002A8C: DBFE2C00 1C0000DF
	ds_read_b128 a[36:39], v223 offset:12288                   // 000000002A94: DBFE3000 240000DF
	ds_read_b128 a[44:47], v223 offset:13312                   // 000000002A9C: DBFE3400 2C0000DF
	ds_read_b128 a[52:55], v223 offset:14336                   // 000000002AA4: DBFE3800 340000DF
	ds_read_b128 a[60:63], v223 offset:15360                   // 000000002AAC: DBFE3C00 3C0000DF
	ds_read_b128 a[68:71], v223 offset:16384                   // 000000002AB4: DBFE4000 440000DF
	v_lshlrev_b32_e32 v35, 2, v0                               // 000000002ABC: 24460082
	s_mov_b32 s56, 0x200                                       // 000000002AC0: BEB800FF 00000200
	s_lshr_b32 s57, s7, 1                                      // 000000002AC8: 8F398107
	s_mul_i32 s56, s57, s56                                    // 000000002ACC: 92383839
	v_add_u32_e32 v40, s56, v35                                // 000000002AD0: 68504638
	v_lshlrev_b32_e32 v35, 2, v0                               // 000000002AD4: 24460082
	s_mov_b32 s56, 0x100                                       // 000000002AD8: BEB800FF 00000100
	s_mul_i32 s56, s7, s56                                     // 000000002AE0: 92383807
	v_add_u32_e32 v41, s56, v35                                // 000000002AE4: 68524638
	v_lshlrev_b32_e32 v35, 4, v0                               // 000000002AE8: 24460084
	s_mov_b32 s56, 0x800                                       // 000000002AEC: BEB800FF 00000800
	s_lshr_b32 s57, s7, 1                                      // 000000002AF4: 8F398107
	s_mul_i32 s56, s57, s56                                    // 000000002AF8: 92383839
	v_add_u32_e32 v42, s56, v35                                // 000000002AFC: 68544638
	v_lshlrev_b32_e32 v35, 4, v0                               // 000000002B00: 24460084
	s_mov_b32 s56, 0x400                                       // 000000002B04: BEB800FF 00000400
	s_mul_i32 s56, s7, s56                                     // 000000002B0C: 92383807
	v_add_u32_e32 v43, s56, v35                                // 000000002B10: 68564638
	v_mov_b32_e32 v76, 0                                       // 000000002B14: 7E980280
	v_mov_b32_e32 v77, 0                                       // 000000002B18: 7E9A0280
	v_mov_b32_e32 v78, 0                                       // 000000002B1C: 7E9C0280
	v_mov_b32_e32 v79, 0                                       // 000000002B20: 7E9E0280
	v_mov_b32_e32 v80, 0                                       // 000000002B24: 7EA00280
	v_mov_b32_e32 v81, 0                                       // 000000002B28: 7EA20280
	v_mov_b32_e32 v82, 0                                       // 000000002B2C: 7EA40280
	v_mov_b32_e32 v83, 0                                       // 000000002B30: 7EA60280
	v_mov_b32_e32 v84, 0                                       // 000000002B34: 7EA80280
	v_mov_b32_e32 v85, 0                                       // 000000002B38: 7EAA0280
	v_mov_b32_e32 v86, 0                                       // 000000002B3C: 7EAC0280
	v_mov_b32_e32 v87, 0                                       // 000000002B40: 7EAE0280
	v_mov_b32_e32 v88, 0                                       // 000000002B44: 7EB00280
	v_mov_b32_e32 v89, 0                                       // 000000002B48: 7EB20280
	v_mov_b32_e32 v90, 0                                       // 000000002B4C: 7EB40280
	v_mov_b32_e32 v91, 0                                       // 000000002B50: 7EB60280
	v_mov_b32_e32 v92, 0                                       // 000000002B54: 7EB80280
	v_mov_b32_e32 v93, 0                                       // 000000002B58: 7EBA0280
	v_mov_b32_e32 v94, 0                                       // 000000002B5C: 7EBC0280
	v_mov_b32_e32 v95, 0                                       // 000000002B60: 7EBE0280
	v_mov_b32_e32 v96, 0                                       // 000000002B64: 7EC00280
	v_mov_b32_e32 v97, 0                                       // 000000002B68: 7EC20280
	v_mov_b32_e32 v98, 0                                       // 000000002B6C: 7EC40280
	v_mov_b32_e32 v99, 0                                       // 000000002B70: 7EC60280
	v_mov_b32_e32 v100, 0                                      // 000000002B74: 7EC80280
	v_mov_b32_e32 v101, 0                                      // 000000002B78: 7ECA0280
	v_mov_b32_e32 v102, 0                                      // 000000002B7C: 7ECC0280
	v_mov_b32_e32 v103, 0                                      // 000000002B80: 7ECE0280
	v_mov_b32_e32 v104, 0                                      // 000000002B84: 7ED00280
	v_mov_b32_e32 v105, 0                                      // 000000002B88: 7ED20280
	v_mov_b32_e32 v106, 0                                      // 000000002B8C: 7ED40280
	v_mov_b32_e32 v107, 0                                      // 000000002B90: 7ED60280
	v_mov_b32_e32 v108, 0                                      // 000000002B94: 7ED80280
	v_mov_b32_e32 v109, 0                                      // 000000002B98: 7EDA0280
	v_mov_b32_e32 v110, 0                                      // 000000002B9C: 7EDC0280
	v_mov_b32_e32 v111, 0                                      // 000000002BA0: 7EDE0280
	v_mov_b32_e32 v112, 0                                      // 000000002BA4: 7EE00280
	v_mov_b32_e32 v113, 0                                      // 000000002BA8: 7EE20280
	v_mov_b32_e32 v114, 0                                      // 000000002BAC: 7EE40280
	v_mov_b32_e32 v115, 0                                      // 000000002BB0: 7EE60280
	v_mov_b32_e32 v116, 0                                      // 000000002BB4: 7EE80280
	v_mov_b32_e32 v117, 0                                      // 000000002BB8: 7EEA0280
	v_mov_b32_e32 v118, 0                                      // 000000002BBC: 7EEC0280
	v_mov_b32_e32 v119, 0                                      // 000000002BC0: 7EEE0280
	v_mov_b32_e32 v120, 0                                      // 000000002BC4: 7EF00280
	v_mov_b32_e32 v121, 0                                      // 000000002BC8: 7EF20280
	v_mov_b32_e32 v122, 0                                      // 000000002BCC: 7EF40280
	v_mov_b32_e32 v123, 0                                      // 000000002BD0: 7EF60280
	v_mov_b32_e32 v124, 0                                      // 000000002BD4: 7EF80280
	v_mov_b32_e32 v125, 0                                      // 000000002BD8: 7EFA0280
	v_mov_b32_e32 v126, 0                                      // 000000002BDC: 7EFC0280
	v_mov_b32_e32 v127, 0                                      // 000000002BE0: 7EFE0280
	v_mov_b32_e32 v128, 0                                      // 000000002BE4: 7F000280
	v_mov_b32_e32 v129, 0                                      // 000000002BE8: 7F020280
	v_mov_b32_e32 v130, 0                                      // 000000002BEC: 7F040280
	v_mov_b32_e32 v131, 0                                      // 000000002BF0: 7F060280
	v_mov_b32_e32 v132, 0                                      // 000000002BF4: 7F080280
	v_mov_b32_e32 v133, 0                                      // 000000002BF8: 7F0A0280
	v_mov_b32_e32 v134, 0                                      // 000000002BFC: 7F0C0280
	v_mov_b32_e32 v135, 0                                      // 000000002C00: 7F0E0280
	v_mov_b32_e32 v136, 0                                      // 000000002C04: 7F100280
	v_mov_b32_e32 v137, 0                                      // 000000002C08: 7F120280
	v_mov_b32_e32 v138, 0                                      // 000000002C0C: 7F140280
	v_mov_b32_e32 v139, 0                                      // 000000002C10: 7F160280
	v_mov_b32_e32 v140, 0                                      // 000000002C14: 7F180280
	v_mov_b32_e32 v141, 0                                      // 000000002C18: 7F1A0280
	v_mov_b32_e32 v142, 0                                      // 000000002C1C: 7F1C0280
	v_mov_b32_e32 v143, 0                                      // 000000002C20: 7F1E0280
	v_mov_b32_e32 v144, 0                                      // 000000002C24: 7F200280
	v_mov_b32_e32 v145, 0                                      // 000000002C28: 7F220280
	v_mov_b32_e32 v146, 0                                      // 000000002C2C: 7F240280
	v_mov_b32_e32 v147, 0                                      // 000000002C30: 7F260280
	v_mov_b32_e32 v148, 0                                      // 000000002C34: 7F280280
	v_mov_b32_e32 v149, 0                                      // 000000002C38: 7F2A0280
	v_mov_b32_e32 v150, 0                                      // 000000002C3C: 7F2C0280
	v_mov_b32_e32 v151, 0                                      // 000000002C40: 7F2E0280
	v_mov_b32_e32 v152, 0                                      // 000000002C44: 7F300280
	v_mov_b32_e32 v153, 0                                      // 000000002C48: 7F320280
	v_mov_b32_e32 v154, 0                                      // 000000002C4C: 7F340280
	v_mov_b32_e32 v155, 0                                      // 000000002C50: 7F360280
	v_mov_b32_e32 v156, 0                                      // 000000002C54: 7F380280
	v_mov_b32_e32 v157, 0                                      // 000000002C58: 7F3A0280
	v_mov_b32_e32 v158, 0                                      // 000000002C5C: 7F3C0280
	v_mov_b32_e32 v159, 0                                      // 000000002C60: 7F3E0280
	v_mov_b32_e32 v160, 0                                      // 000000002C64: 7F400280
	v_mov_b32_e32 v161, 0                                      // 000000002C68: 7F420280
	v_mov_b32_e32 v162, 0                                      // 000000002C6C: 7F440280
	v_mov_b32_e32 v163, 0                                      // 000000002C70: 7F460280
	v_mov_b32_e32 v164, 0                                      // 000000002C74: 7F480280
	v_mov_b32_e32 v165, 0                                      // 000000002C78: 7F4A0280
	v_mov_b32_e32 v166, 0                                      // 000000002C7C: 7F4C0280
	v_mov_b32_e32 v167, 0                                      // 000000002C80: 7F4E0280
	v_mov_b32_e32 v168, 0                                      // 000000002C84: 7F500280
	v_mov_b32_e32 v169, 0                                      // 000000002C88: 7F520280
	v_mov_b32_e32 v170, 0                                      // 000000002C8C: 7F540280
	v_mov_b32_e32 v171, 0                                      // 000000002C90: 7F560280
	v_mov_b32_e32 v172, 0                                      // 000000002C94: 7F580280
	v_mov_b32_e32 v173, 0                                      // 000000002C98: 7F5A0280
	v_mov_b32_e32 v174, 0                                      // 000000002C9C: 7F5C0280
	v_mov_b32_e32 v175, 0                                      // 000000002CA0: 7F5E0280
	v_mov_b32_e32 v176, 0                                      // 000000002CA4: 7F600280
	v_mov_b32_e32 v177, 0                                      // 000000002CA8: 7F620280
	v_mov_b32_e32 v178, 0                                      // 000000002CAC: 7F640280
	v_mov_b32_e32 v179, 0                                      // 000000002CB0: 7F660280
	v_mov_b32_e32 v180, 0                                      // 000000002CB4: 7F680280
	v_mov_b32_e32 v181, 0                                      // 000000002CB8: 7F6A0280
	v_mov_b32_e32 v182, 0                                      // 000000002CBC: 7F6C0280
	v_mov_b32_e32 v183, 0                                      // 000000002CC0: 7F6E0280
	v_mov_b32_e32 v184, 0                                      // 000000002CC4: 7F700280
	v_mov_b32_e32 v185, 0                                      // 000000002CC8: 7F720280
	v_mov_b32_e32 v186, 0                                      // 000000002CCC: 7F740280
	v_mov_b32_e32 v187, 0                                      // 000000002CD0: 7F760280
	v_mov_b32_e32 v188, 0                                      // 000000002CD4: 7F780280
	v_mov_b32_e32 v189, 0                                      // 000000002CD8: 7F7A0280
	v_mov_b32_e32 v190, 0                                      // 000000002CDC: 7F7C0280
	v_mov_b32_e32 v191, 0                                      // 000000002CE0: 7F7E0280
	v_mov_b32_e32 v192, 0                                      // 000000002CE4: 7F800280
	v_mov_b32_e32 v193, 0                                      // 000000002CE8: 7F820280
	v_mov_b32_e32 v194, 0                                      // 000000002CEC: 7F840280
	v_mov_b32_e32 v195, 0                                      // 000000002CF0: 7F860280
	v_mov_b32_e32 v196, 0                                      // 000000002CF4: 7F880280
	v_mov_b32_e32 v197, 0                                      // 000000002CF8: 7F8A0280
	v_mov_b32_e32 v198, 0                                      // 000000002CFC: 7F8C0280
	v_mov_b32_e32 v199, 0                                      // 000000002D00: 7F8E0280
	v_mov_b32_e32 v200, 0                                      // 000000002D04: 7F900280
	v_mov_b32_e32 v201, 0                                      // 000000002D08: 7F920280
	v_mov_b32_e32 v202, 0                                      // 000000002D0C: 7F940280
	v_mov_b32_e32 v203, 0                                      // 000000002D10: 7F960280
	s_waitcnt lgkmcnt(0)                                       // 000000002D14: BF8CC07F
	v_mul_u32_u24_e64 v217, v30, s68                           // 000000002D18: D10800D9 0000891E
	v_add_u32_e32 v217, v217, v1                               // 000000002D20: 69B203D9
	s_mov_b32 s56, 0xb000                                      // 000000002D24: BEB800FF 0000B000
	s_mul_i32 s57, s7, 0x2400                                  // 000000002D2C: 9239FF07 00002400
	s_add_u32 m0, s56, s57                                     // 000000002D34: 807C3938
	buffer_load_dwordx4 v217, s[20:23], 0 offen lds            // 000000002D38: E05D1000 800500D9
	s_add_i32 m0, m0, 0x3c0                                    // 000000002D40: 817CFF7C 000003C0
	buffer_load_dwordx4 v217, s[20:23], 0 offen offset:64 lds  // 000000002D48: E05D1040 800500D9
	s_add_i32 m0, m0, 0x3c0                                    // 000000002D50: 817CFF7C 000003C0
	buffer_load_dwordx4 v217, s[20:23], 0 offen offset:128 lds // 000000002D58: E05D1080 800500D9
	s_add_i32 m0, m0, 0x3c0                                    // 000000002D60: 817CFF7C 000003C0
	buffer_load_dwordx4 v217, s[20:23], 0 offen offset:192 lds // 000000002D68: E05D10C0 800500D9
	s_add_i32 m0, m0, 0x3c0                                    // 000000002D70: 817CFF7C 000003C0
	buffer_load_dwordx4 v217, s[20:23], 0 offen offset:256 lds // 000000002D78: E05D1100 800500D9
	s_add_i32 m0, m0, 0x3c0                                    // 000000002D80: 817CFF7C 000003C0
	buffer_load_dwordx4 v217, s[20:23], 0 offen offset:320 lds // 000000002D88: E05D1140 800500D9
	s_add_i32 m0, m0, 0x3c0                                    // 000000002D90: 817CFF7C 000003C0
	buffer_load_dwordx4 v217, s[20:23], 0 offen offset:384 lds // 000000002D98: E05D1180 800500D9
	s_add_i32 m0, m0, 0x3c0                                    // 000000002DA0: 817CFF7C 000003C0
	buffer_load_dwordx4 v217, s[20:23], 0 offen offset:448 lds // 000000002DA8: E05D11C0 800500D9
	s_add_i32 m0, m0, 0x3c0                                    // 000000002DB0: 817CFF7C 000003C0
	buffer_load_dwordx4 v217, s[20:23], 0 offen offset:512 lds // 000000002DB8: E05D1200 800500D9
	s_add_i32 m0, m0, 0x3c0                                    // 000000002DC0: 817CFF7C 000003C0
	buffer_load_dword v32, v34, s[24:27], 0 offen              // 000000002DC8: E0501000 80062022
	v_add_u32_e32 v34, s73, v34                                // 000000002DD0: 68444449
	v_and_b32_e32 v35, 15, v0                                  // 000000002DD4: 2646008F
	v_lshlrev_b32_e32 v35, 4, v35                              // 000000002DD8: 24464684
	v_and_b32_e32 v36, 31, v0                                  // 000000002DDC: 2648009F
	v_lshrrev_b32_e32 v36, 4, v36                              // 000000002DE0: 20484884
	s_mov_b32 s56, 0x900                                       // 000000002DE4: BEB800FF 00000900
	v_mul_i32_i24_e32 v36, s56, v36                            // 000000002DEC: 0C484838
	v_add_u32_e32 v22, v35, v36                                // 000000002DF0: 682C4923
	v_mov_b32_e32 v23, v22                                     // 000000002DF4: 7E2E0316
	v_and_b32_e32 v35, 15, v0                                  // 000000002DF8: 2646008F
	v_lshrrev_b32_e32 v35, 3, v35                              // 000000002DFC: 20464683
	v_lshlrev_b32_e32 v35, 3, v35                              // 000000002E00: 24464683
	v_lshrrev_b32_e32 v36, 5, v0                               // 000000002E04: 20480085
	v_lshlrev_b32_e32 v36, 2, v36                              // 000000002E08: 24484882
	v_add_u32_e32 v22, v22, v35                                // 000000002E0C: 682C4716
	v_add_u32_e32 v22, v22, v36                                // 000000002E10: 682C4916
	v_and_b32_e32 v35, 15, v0                                  // 000000002E14: 2646008F
	v_lshrrev_b32_e32 v35, 3, v35                              // 000000002E18: 20464683
	s_mov_b32 s56, 1                                           // 000000002E1C: BEB80081
	v_mov_b32_e32 v36, s56                                     // 000000002E20: 7E480238
	v_xor_b32_e32 v35, v36, v35                                // 000000002E24: 2A464724
	v_lshlrev_b32_e32 v35, 3, v35                              // 000000002E28: 24464683
	v_lshrrev_b32_e32 v36, 5, v0                               // 000000002E2C: 20480085
	v_lshlrev_b32_e32 v36, 2, v36                              // 000000002E30: 24484882
	v_add_u32_e32 v23, v23, v35                                // 000000002E34: 682E4717
	v_add_u32_e32 v23, v23, v36                                // 000000002E38: 682E4917
	s_mov_b32 s56, 0                                           // 000000002E3C: BEB80080
	v_lshlrev_b32_e32 v22, 2, v22                              // 000000002E40: 242C2C82
	v_lshlrev_b32_e32 v23, 2, v23                              // 000000002E44: 242E2E82
	s_and_b32 s56, s7, 1                                       // 000000002E48: 86388107
	s_mov_b32 s57, 0x4800                                      // 000000002E4C: BEB900FF 00004800
	s_mul_i32 s56, s57, s56                                    // 000000002E54: 92383839
	v_add_u32_e32 v22, s56, v22                                // 000000002E58: 682C2C38
	v_add_u32_e32 v23, s56, v23                                // 000000002E5C: 682E2E38
	s_mov_b32 s56, 0x2000                                      // 000000002E60: BEB800FF 00002000
	v_add_u32_e32 v22, s56, v22                                // 000000002E68: 682C2C38
	v_add_u32_e32 v23, s56, v23                                // 000000002E6C: 682E2E38
	s_mov_b32 s57, 0x9000                                      // 000000002E70: BEB900FF 00009000
	v_add_u32_e32 v24, s57, v22                                // 000000002E78: 68302C39
	v_add_u32_e32 v25, s57, v23                                // 000000002E7C: 68322E39
	v_add_u32_e32 v26, s57, v24                                // 000000002E80: 68343039
	v_add_u32_e32 v27, s57, v25                                // 000000002E84: 68363239
	v_add_u32_e32 v28, s57, v26                                // 000000002E88: 68383439
	v_add_u32_e32 v29, s57, v27                                // 000000002E8C: 683A3639
	v_and_b32_e32 v35, 15, v0                                  // 000000002E90: 2646008F
	v_lshrrev_b32_e32 v35, 1, v35                              // 000000002E94: 20464681
	v_lshlrev_b32_e32 v35, 4, v35                              // 000000002E98: 24464684
	v_and_b32_e32 v36, 1, v0                                   // 000000002E9C: 26480081
	v_lshlrev_b32_e32 v36, 1, v36                              // 000000002EA0: 24484881
	v_and_b32_e32 v37, 31, v0                                  // 000000002EA4: 264A009F
	v_lshrrev_b32_e32 v37, 4, v37                              // 000000002EA8: 204A4A84
	v_lshlrev_b32_e32 v37, 2, v37                              // 000000002EAC: 244A4A82
	v_lshrrev_b32_e32 v38, 5, v0                               // 000000002EB0: 204C0085
	s_mov_b32 s56, 0x900                                       // 000000002EB4: BEB800FF 00000900
	v_mul_i32_i24_e32 v38, s56, v38                            // 000000002EBC: 0C4C4C38
	v_add_u32_e32 v5, v35, v36                                 // 000000002EC0: 680A4923
	v_add_u32_e32 v5, v37, v5                                  // 000000002EC4: 680A0B25
	v_add_u32_e32 v5, v38, v5                                  // 000000002EC8: 680A0B26
	s_mov_b32 s56, 0x88                                        // 000000002ECC: BEB800FF 00000088
	v_add_u32_e32 v6, s56, v5                                  // 000000002ED4: 680C0A38
	s_mov_b32 s56, 8                                           // 000000002ED8: BEB80088
	v_add_u32_e32 v7, s56, v5                                  // 000000002EDC: 680E0A38
	s_mov_b32 s56, 0x80                                        // 000000002EE0: BEB800FF 00000080
	v_add_u32_e32 v8, s56, v5                                  // 000000002EE8: 68100A38
	v_lshlrev_b32_e32 v5, 2, v5                                // 000000002EEC: 240A0A82
	v_lshlrev_b32_e32 v6, 2, v6                                // 000000002EF0: 240C0C82
	v_lshlrev_b32_e32 v7, 2, v7                                // 000000002EF4: 240E0E82
	v_lshlrev_b32_e32 v8, 2, v8                                // 000000002EF8: 24101082
	s_and_b32 s56, s7, 1                                       // 000000002EFC: 86388107
	s_mov_b32 s57, 0x1000                                      // 000000002F00: BEB900FF 00001000
	s_mul_i32 s56, s56, s57                                    // 000000002F08: 92383938
	v_add_u32_e32 v5, s56, v5                                  // 000000002F0C: 680A0A38
	v_add_u32_e32 v6, s56, v6                                  // 000000002F10: 680C0C38
	v_add_u32_e32 v7, s56, v7                                  // 000000002F14: 680E0E38
	v_add_u32_e32 v8, s56, v8                                  // 000000002F18: 68101038
	s_mov_b32 s56, 0x2000                                      // 000000002F1C: BEB800FF 00002000
	v_add_u32_e32 v5, s56, v5                                  // 000000002F24: 680A0A38
	v_add_u32_e32 v6, s56, v6                                  // 000000002F28: 680C0C38
	v_add_u32_e32 v7, s56, v7                                  // 000000002F2C: 680E0E38
	v_add_u32_e32 v8, s56, v8                                  // 000000002F30: 68101038
	s_mov_b32 s56, 0x9000                                      // 000000002F34: BEB800FF 00009000
	v_add_u32_e32 v9, s56, v5                                  // 000000002F3C: 68120A38
	v_add_u32_e32 v10, s56, v6                                 // 000000002F40: 68140C38
	v_add_u32_e32 v11, s56, v7                                 // 000000002F44: 68160E38
	v_add_u32_e32 v12, s56, v8                                 // 000000002F48: 68181038
	v_add_u32_e32 v13, s56, v9                                 // 000000002F4C: 681A1238
	v_add_u32_e32 v14, s56, v10                                // 000000002F50: 681C1438
	v_add_u32_e32 v15, s56, v11                                // 000000002F54: 681E1638
	v_add_u32_e32 v16, s56, v12                                // 000000002F58: 68201838
	v_add_u32_e32 v17, s56, v13                                // 000000002F5C: 68221A38
	v_add_u32_e32 v18, s56, v14                                // 000000002F60: 68241C38
	v_add_u32_e32 v19, s56, v15                                // 000000002F64: 68261E38
	v_add_u32_e32 v20, s56, v16                                // 000000002F68: 68282038
	v_mul_u32_u24_e64 v217, v31, s68                           // 000000002F6C: D10800D9 0000891F
	v_add_u32_e32 v217, v217, v1                               // 000000002F74: 69B203D9
	s_mov_b32 s56, 0x14000                                     // 000000002F78: BEB800FF 00014000
	s_mul_i32 s57, s7, 0x2400                                  // 000000002F80: 9239FF07 00002400
	s_add_u32 m0, s56, s57                                     // 000000002F88: 807C3938
	buffer_load_dwordx4 v217, s[20:23], 0 offen lds            // 000000002F8C: E05D1000 800500D9
	s_add_i32 m0, m0, 0x3c0                                    // 000000002F94: 817CFF7C 000003C0
	buffer_load_dwordx4 v217, s[20:23], 0 offen offset:64 lds  // 000000002F9C: E05D1040 800500D9
	s_add_i32 m0, m0, 0x3c0                                    // 000000002FA4: 817CFF7C 000003C0
	buffer_load_dwordx4 v217, s[20:23], 0 offen offset:128 lds // 000000002FAC: E05D1080 800500D9
	s_add_i32 m0, m0, 0x3c0                                    // 000000002FB4: 817CFF7C 000003C0
	buffer_load_dwordx4 v217, s[20:23], 0 offen offset:192 lds // 000000002FBC: E05D10C0 800500D9
	s_add_i32 m0, m0, 0x3c0                                    // 000000002FC4: 817CFF7C 000003C0
	buffer_load_dwordx4 v217, s[20:23], 0 offen offset:256 lds // 000000002FCC: E05D1100 800500D9
	s_add_i32 m0, m0, 0x3c0                                    // 000000002FD4: 817CFF7C 000003C0
	buffer_load_dwordx4 v217, s[20:23], 0 offen offset:320 lds // 000000002FDC: E05D1140 800500D9
	s_add_i32 m0, m0, 0x3c0                                    // 000000002FE4: 817CFF7C 000003C0
	buffer_load_dwordx4 v217, s[20:23], 0 offen offset:384 lds // 000000002FEC: E05D1180 800500D9
	s_add_i32 m0, m0, 0x3c0                                    // 000000002FF4: 817CFF7C 000003C0
	buffer_load_dwordx4 v217, s[20:23], 0 offen offset:448 lds // 000000002FFC: E05D11C0 800500D9
	s_add_i32 m0, m0, 0x3c0                                    // 000000003004: 817CFF7C 000003C0
	buffer_load_dwordx4 v217, s[20:23], 0 offen offset:512 lds // 00000000300C: E05D1200 800500D9
	s_add_i32 m0, m0, 0x3c0                                    // 000000003014: 817CFF7C 000003C0
	buffer_load_dword v33, v34, s[24:27], 0 offen              // 00000000301C: E0501000 80062122
	v_add_u32_e32 v34, s73, v34                                // 000000003024: 68444449
	s_waitcnt vmcnt(10)                                        // 000000003028: BF8C0F7A
	s_barrier                                                  // 00000000302C: BF8A0000
	s_waitcnt lgkmcnt(0)                                       // 000000003030: BF8CC07F
	ds_read_b128 a[72:75], v24                                 // 000000003034: DBFE0000 48000018
	ds_read_b128 a[76:79], v25                                 // 00000000303C: DBFE0000 4C000019
	ds_read_b128 a[80:83], v24 offset:1024                     // 000000003044: DBFE0400 50000018
	ds_read_b128 a[84:87], v25 offset:1024                     // 00000000304C: DBFE0400 54000019
	ds_read_b128 a[88:91], v24 offset:2048                     // 000000003054: DBFE0800 58000018
	ds_read_b128 a[92:95], v25 offset:2048                     // 00000000305C: DBFE0800 5C000019
	ds_read_b128 a[96:99], v24 offset:3072                     // 000000003064: DBFE0C00 60000018
	ds_read_b128 a[100:103], v25 offset:3072                   // 00000000306C: DBFE0C00 64000019
	ds_read_b128 a[104:107], v24 offset:4096                   // 000000003074: DBFE1000 68000018
	ds_read_b128 a[108:111], v25 offset:4096                   // 00000000307C: DBFE1000 6C000019
	ds_read_b128 a[112:115], v24 offset:5120                   // 000000003084: DBFE1400 70000018
	ds_read_b128 a[116:119], v25 offset:5120                   // 00000000308C: DBFE1400 74000019
	ds_read_b128 a[120:123], v24 offset:6144                   // 000000003094: DBFE1800 78000018
	ds_read_b128 a[124:127], v25 offset:6144                   // 00000000309C: DBFE1800 7C000019
	ds_read_b128 a[128:131], v24 offset:7168                   // 0000000030A4: DBFE1C00 80000018
	ds_read_b128 a[132:135], v25 offset:7168                   // 0000000030AC: DBFE1C00 84000019
	ds_read_b128 a[136:139], v24 offset:8192                   // 0000000030B4: DBFE2000 88000018
	ds_read_b128 a[140:143], v25 offset:8192                   // 0000000030BC: DBFE2000 8C000019
	s_cmp_lt_u32 s71, 1                                        // 0000000030C4: BF0A8147
	s_cselect_b32 s83, 64, 0                                   // 0000000030C8: 855380C0
	s_cbranch_scc1 label_5CE4                                  // 0000000030CC: BF851405
	s_waitcnt lgkmcnt(4)                                       // 0000000030D0: BF8CC47F
	s_waitcnt vmcnt(0)                                         // 0000000030D4: BF8C0F70
	s_barrier                                                  // 0000000030D8: BF8A0000
	v_mfma_f32_32x32x64_f8f6f4 v[44:59], a[72:79], a[0:7], 0   // 0000000030DC: D3AE002C 1A020148
	v_mul_u32_u24_e64 v217, v32, s68                           // 0000000030E4: D10800D9 00008920
	v_add_u32_e32 v217, v217, v1                               // 0000000030EC: 69B203D9
	buffer_load_dword v30, v34, s[24:27], 0 offen              // 0000000030F0: E0501000 80061E22
	ds_read_b128 a[72:75], v26                                 // 0000000030F8: DBFE0000 4800001A
	ds_read_b128 a[76:79], v27                                 // 000000003100: DBFE0000 4C00001B
	v_mfma_f32_32x32x64_f8f6f4 v[44:59], a[80:87], a[8:15], v[44:59]// 000000003108: D3AE002C 1CB21150
	s_mov_b32 s56, 0x1d000                                     // 000000003110: BEB800FF 0001D000
	s_mul_i32 s57, s7, 0x2400                                  // 000000003118: 9239FF07 00002400
	s_add_u32 m0, s56, s57                                     // 000000003120: 807C3938
	buffer_load_dwordx4 v217, s[20:23], 0 offen lds            // 000000003124: E05D1000 800500D9
	s_add_i32 m0, m0, 0x3c0                                    // 00000000312C: 817CFF7C 000003C0
	ds_read_b128 a[80:83], v26 offset:1024                     // 000000003134: DBFE0400 5000001A
	ds_read_b128 a[84:87], v27 offset:1024                     // 00000000313C: DBFE0400 5400001B
	v_mfma_f32_32x32x64_f8f6f4 v[44:59], a[88:95], a[16:23], v[44:59]// 000000003144: D3AE002C 1CB22158
	ds_read_b128 a[88:91], v26 offset:2048                     // 00000000314C: DBFE0800 5800001A
	ds_read_b128 a[92:95], v27 offset:2048                     // 000000003154: DBFE0800 5C00001B
	v_mfma_f32_32x32x64_f8f6f4 v[44:59], a[96:103], a[24:31], v[44:59]// 00000000315C: D3AE002C 1CB23160
	buffer_load_dwordx4 v217, s[20:23], 0 offen offset:64 lds  // 000000003164: E05D1040 800500D9
	s_add_i32 m0, m0, 0x3c0                                    // 00000000316C: 817CFF7C 000003C0
	ds_read_b128 a[96:99], v26 offset:3072                     // 000000003174: DBFE0C00 6000001A
	ds_read_b128 a[100:103], v27 offset:3072                   // 00000000317C: DBFE0C00 6400001B
	v_mfma_f32_32x32x64_f8f6f4 v[44:59], a[104:111], a[32:39], v[44:59]// 000000003184: D3AE002C 1CB24168
	ds_read_b128 a[104:107], v26 offset:4096                   // 00000000318C: DBFE1000 6800001A
	ds_read_b128 a[108:111], v27 offset:4096                   // 000000003194: DBFE1000 6C00001B
	v_mfma_f32_32x32x64_f8f6f4 v[44:59], a[112:119], a[40:47], v[44:59]// 00000000319C: D3AE002C 1CB25170
	buffer_load_dwordx4 v217, s[20:23], 0 offen offset:128 lds // 0000000031A4: E05D1080 800500D9
	s_add_i32 m0, m0, 0x3c0                                    // 0000000031AC: 817CFF7C 000003C0
	ds_read_b128 a[112:115], v26 offset:5120                   // 0000000031B4: DBFE1400 7000001A
	ds_read_b128 a[116:119], v27 offset:5120                   // 0000000031BC: DBFE1400 7400001B
	v_mfma_f32_32x32x64_f8f6f4 v[44:59], a[120:127], a[48:55], v[44:59]// 0000000031C4: D3AE002C 1CB26178
	ds_read_b128 a[120:123], v26 offset:6144                   // 0000000031CC: DBFE1800 7800001A
	ds_read_b128 a[124:127], v27 offset:6144                   // 0000000031D4: DBFE1800 7C00001B
	v_mfma_f32_32x32x64_f8f6f4 v[44:59], a[128:135], a[56:63], v[44:59]// 0000000031DC: D3AE002C 1CB27180
	buffer_load_dwordx4 v217, s[20:23], 0 offen offset:192 lds // 0000000031E4: E05D10C0 800500D9
	s_add_i32 m0, m0, 0x3c0                                    // 0000000031EC: 817CFF7C 000003C0
	ds_read_b128 a[128:131], v26 offset:7168                   // 0000000031F4: DBFE1C00 8000001A
	ds_read_b128 a[132:135], v27 offset:7168                   // 0000000031FC: DBFE1C00 8400001B
	v_mfma_f32_32x32x64_f8f6f4 v[44:59], a[136:143], a[64:71], v[44:59]// 000000003204: D3AE002C 1CB28188
	ds_read_b128 a[136:139], v26 offset:8192                   // 00000000320C: DBFE2000 8800001A
	ds_read_b128 a[140:143], v27 offset:8192                   // 000000003214: DBFE2000 8C00001B
	buffer_load_dwordx4 v217, s[20:23], 0 offen offset:256 lds // 00000000321C: E05D1100 800500D9
	s_add_i32 m0, m0, 0x3c0                                    // 000000003224: 817CFF7C 000003C0
	buffer_load_dwordx4 v217, s[20:23], 0 offen offset:320 lds // 00000000322C: E05D1140 800500D9
	s_add_i32 m0, m0, 0x3c0                                    // 000000003234: 817CFF7C 000003C0
	buffer_load_dwordx4 v217, s[20:23], 0 offen offset:384 lds // 00000000323C: E05D1180 800500D9
	s_add_i32 m0, m0, 0x3c0                                    // 000000003244: 817CFF7C 000003C0
	buffer_load_dwordx4 v217, s[20:23], 0 offen offset:448 lds // 00000000324C: E05D11C0 800500D9
	s_add_i32 m0, m0, 0x3c0                                    // 000000003254: 817CFF7C 000003C0
	buffer_load_dwordx4 v217, s[20:23], 0 offen offset:512 lds // 00000000325C: E05D1200 800500D9
	s_add_i32 m0, m0, 0x3c0                                    // 000000003264: 817CFF7C 000003C0
	v_add_u32_e32 v34, s73, v34                                // 00000000326C: 68444449
	s_mov_b32 s83, 64                                          // 000000003270: BED300C0
	s_cmp_le_i32 s83, s82                                      // 000000003274: BF055253
	s_cbranch_scc1 label_1048                                  // 000000003278: BF850073
	v_and_b32_e32 v35, 31, v0                                  // 00000000327C: 2646009F
	v_lshrrev_b32_e32 v35, 3, v35                              // 000000003280: 20464683
	v_add_u32_e32 v35, s82, v35                                // 000000003284: 68464652
	s_and_b32 s56, 2, s7                                       // 000000003288: 86380782
	s_lshl_b32 s56, s56, 1                                     // 00000000328C: 8E388138
	v_add_u32_e32 v35, s56, v35                                // 000000003290: 68464638
	s_sub_u32 s56, s83, 64                                     // 000000003294: 80B8C053
	v_lshrrev_b32_e32 v204, 5, v0                              // 000000003298: 21980085
	v_mul_i32_i24_e32 v204, 4, v204                            // 00000000329C: 0D999884
	v_add_u32_e32 v204, s56, v204                              // 0000000032A0: 69999838
	s_and_b32 s56, s7, 1                                       // 0000000032A4: 86388107
	s_mov_b32 s57, 32                                          // 0000000032A8: BEB900A0
	s_mul_i32 s56, s57, s56                                    // 0000000032AC: 92383839
	v_add_u32_e32 v204, s56, v204                              // 0000000032B0: 69999838
	v_add_u32_e32 v205, 1, v204                                // 0000000032B4: 699B9881
	v_add_u32_e32 v206, 2, v204                                // 0000000032B8: 699D9882
	v_add_u32_e32 v207, 3, v204                                // 0000000032BC: 699F9883
	v_mov_b32_e32 v37, 0xff800000                              // 0000000032C0: 7E4A02FF FF800000
	v_cmp_le_i32_e64 s[36:37], v204, v35                       // 0000000032C8: D0C30024 000247CC
	s_nop 0                                                    // 0000000032D0: BF800000
	v_cndmask_b32_e64 v44, v37, v44, s[36:37]                  // 0000000032D4: D100002C 00925925
	v_add_u32_e32 v204, 8, v204                                // 0000000032DC: 69999888
	v_cmp_le_i32_e64 s[36:37], v205, v35                       // 0000000032E0: D0C30024 000247CD
	s_nop 0                                                    // 0000000032E8: BF800000
	v_cndmask_b32_e64 v45, v37, v45, s[36:37]                  // 0000000032EC: D100002D 00925B25
	v_add_u32_e32 v205, 8, v205                                // 0000000032F4: 699B9A88
	v_cmp_le_i32_e64 s[36:37], v206, v35                       // 0000000032F8: D0C30024 000247CE
	s_nop 0                                                    // 000000003300: BF800000
	v_cndmask_b32_e64 v46, v37, v46, s[36:37]                  // 000000003304: D100002E 00925D25
	v_add_u32_e32 v206, 8, v206                                // 00000000330C: 699D9C88
	v_cmp_le_i32_e64 s[36:37], v207, v35                       // 000000003310: D0C30024 000247CF
	s_nop 0                                                    // 000000003318: BF800000
	v_cndmask_b32_e64 v47, v37, v47, s[36:37]                  // 00000000331C: D100002F 00925F25
	v_add_u32_e32 v207, 8, v207                                // 000000003324: 699F9E88
	v_cmp_le_i32_e64 s[36:37], v204, v35                       // 000000003328: D0C30024 000247CC
	s_nop 0                                                    // 000000003330: BF800000
	v_cndmask_b32_e64 v48, v37, v48, s[36:37]                  // 000000003334: D1000030 00926125
	v_add_u32_e32 v204, 8, v204                                // 00000000333C: 69999888
	v_cmp_le_i32_e64 s[36:37], v205, v35                       // 000000003340: D0C30024 000247CD
	s_nop 0                                                    // 000000003348: BF800000
	v_cndmask_b32_e64 v49, v37, v49, s[36:37]                  // 00000000334C: D1000031 00926325
	v_add_u32_e32 v205, 8, v205                                // 000000003354: 699B9A88
	v_cmp_le_i32_e64 s[36:37], v206, v35                       // 000000003358: D0C30024 000247CE
	s_nop 0                                                    // 000000003360: BF800000
	v_cndmask_b32_e64 v50, v37, v50, s[36:37]                  // 000000003364: D1000032 00926525
	v_add_u32_e32 v206, 8, v206                                // 00000000336C: 699D9C88
	v_cmp_le_i32_e64 s[36:37], v207, v35                       // 000000003370: D0C30024 000247CF
	s_nop 0                                                    // 000000003378: BF800000
	v_cndmask_b32_e64 v51, v37, v51, s[36:37]                  // 00000000337C: D1000033 00926725
	v_add_u32_e32 v207, 8, v207                                // 000000003384: 699F9E88
	v_cmp_le_i32_e64 s[36:37], v204, v35                       // 000000003388: D0C30024 000247CC
	s_nop 0                                                    // 000000003390: BF800000
	v_cndmask_b32_e64 v52, v37, v52, s[36:37]                  // 000000003394: D1000034 00926925
	v_add_u32_e32 v204, 8, v204                                // 00000000339C: 69999888
	v_cmp_le_i32_e64 s[36:37], v205, v35                       // 0000000033A0: D0C30024 000247CD
	s_nop 0                                                    // 0000000033A8: BF800000
	v_cndmask_b32_e64 v53, v37, v53, s[36:37]                  // 0000000033AC: D1000035 00926B25
	v_add_u32_e32 v205, 8, v205                                // 0000000033B4: 699B9A88
	v_cmp_le_i32_e64 s[36:37], v206, v35                       // 0000000033B8: D0C30024 000247CE
	s_nop 0                                                    // 0000000033C0: BF800000
	v_cndmask_b32_e64 v54, v37, v54, s[36:37]                  // 0000000033C4: D1000036 00926D25
	v_add_u32_e32 v206, 8, v206                                // 0000000033CC: 699D9C88
	v_cmp_le_i32_e64 s[36:37], v207, v35                       // 0000000033D0: D0C30024 000247CF
	s_nop 0                                                    // 0000000033D8: BF800000
	v_cndmask_b32_e64 v55, v37, v55, s[36:37]                  // 0000000033DC: D1000037 00926F25
	v_add_u32_e32 v207, 8, v207                                // 0000000033E4: 699F9E88
	v_cmp_le_i32_e64 s[36:37], v204, v35                       // 0000000033E8: D0C30024 000247CC
	s_nop 0                                                    // 0000000033F0: BF800000
	v_cndmask_b32_e64 v56, v37, v56, s[36:37]                  // 0000000033F4: D1000038 00927125
	v_add_u32_e32 v204, 8, v204                                // 0000000033FC: 69999888
	v_cmp_le_i32_e64 s[36:37], v205, v35                       // 000000003400: D0C30024 000247CD
	s_nop 0                                                    // 000000003408: BF800000
	v_cndmask_b32_e64 v57, v37, v57, s[36:37]                  // 00000000340C: D1000039 00927325
	v_add_u32_e32 v205, 8, v205                                // 000000003414: 699B9A88
	v_cmp_le_i32_e64 s[36:37], v206, v35                       // 000000003418: D0C30024 000247CE
	s_nop 0                                                    // 000000003420: BF800000
	v_cndmask_b32_e64 v58, v37, v58, s[36:37]                  // 000000003424: D100003A 00927525
	v_add_u32_e32 v206, 8, v206                                // 00000000342C: 699D9C88
	v_cmp_le_i32_e64 s[36:37], v207, v35                       // 000000003430: D0C30024 000247CF
	s_nop 0                                                    // 000000003438: BF800000
	v_cndmask_b32_e64 v59, v37, v59, s[36:37]                  // 00000000343C: D100003B 00927725
	v_add_u32_e32 v207, 8, v207                                // 000000003444: 699F9E88

0000000000003448 <label_1048>:
	s_add_u32 s83, s84, s83                                    // 000000003448: 80535354
	s_nop 2                                                    // 00000000344C: BF800002
	v_mov_b32_e32 v213, v44                                    // 000000003450: 7FAA032C
	v_max3_f32 v213, v44, v45, v213                            // 000000003454: D1D300D5 07565B2C
	v_max3_f32 v213, v46, v47, v213                            // 00000000345C: D1D300D5 07565F2E
	v_max3_f32 v213, v48, v49, v213                            // 000000003464: D1D300D5 07566330
	v_max3_f32 v213, v50, v51, v213                            // 00000000346C: D1D300D5 07566732
	v_max3_f32 v213, v52, v53, v213                            // 000000003474: D1D300D5 07566B34
	v_max3_f32 v213, v54, v55, v213                            // 00000000347C: D1D300D5 07566F36
	v_max3_f32 v213, v56, v57, v213                            // 000000003484: D1D300D5 07567338
	v_max3_f32 v213, v58, v59, v213                            // 00000000348C: D1D300D5 0756773A
	v_mov_b32_e32 v35, v213                                    // 000000003494: 7E4603D5
	v_mov_b32_e32 v36, v213                                    // 000000003498: 7E4803D5
	s_nop 1                                                    // 00000000349C: BF800001
	v_permlane32_swap_b32_e32 v35, v36                         // 0000000034A0: 7E46B524
	v_max3_f32 v213, v35, v36, v213                            // 0000000034A4: D1D300D5 07564923
	ds_write_b32 v41, v213                                     // 0000000034AC: D81A0000 0000D529
	s_waitcnt lgkmcnt(0)                                       // 0000000034B4: BF8CC07F
	s_barrier                                                  // 0000000034B8: BF8A0000
	ds_read_b32 v35, v40                                       // 0000000034BC: D86C0000 23000028
	ds_read_b32 v36, v40 offset:256                            // 0000000034C4: D86C0100 24000028
	s_waitcnt lgkmcnt(0)                                       // 0000000034CC: BF8CC07F
	v_max3_f32 v213, v35, v36, v213                            // 0000000034D0: D1D300D5 07564923
	v_mov_b32_e32 v35, 0xff800000                              // 0000000034D8: 7E4602FF FF800000
	v_cmp_eq_u32_e64 s[36:37], v35, v2                         // 0000000034E0: D0CA0024 00020523
	v_max_f32_e32 v216, v213, v2                               // 0000000034E8: 17B005D5
	v_sub_f32_e32 v21, v2, v216                                // 0000000034EC: 042BB102
	v_cndmask_b32_e64 v21, v21, 0, s[36:37]                    // 0000000034F0: D1000015 00910115
	v_mov_b32_e32 v2, v216                                     // 0000000034F8: 7E0403D8
	v_mul_f32_e32 v212, s5, v216                               // 0000000034FC: 0BA9B005
	v_mul_f32_e32 v21, s5, v21                                 // 000000003500: 0A2A2A05
	v_exp_f32_e32 v21, v21                                     // 000000003504: 7E2A4115
	v_fma_f32 v44, v44, s5, -v212                              // 000000003508: D1CB002C 87500B2C
	v_fma_f32 v45, v45, s5, -v212                              // 000000003510: D1CB002D 87500B2D
	v_fma_f32 v46, v46, s5, -v212                              // 000000003518: D1CB002E 87500B2E
	v_fma_f32 v47, v47, s5, -v212                              // 000000003520: D1CB002F 87500B2F
	v_fma_f32 v48, v48, s5, -v212                              // 000000003528: D1CB0030 87500B30
	v_fma_f32 v49, v49, s5, -v212                              // 000000003530: D1CB0031 87500B31
	v_fma_f32 v50, v50, s5, -v212                              // 000000003538: D1CB0032 87500B32
	v_fma_f32 v51, v51, s5, -v212                              // 000000003540: D1CB0033 87500B33
	v_fma_f32 v52, v52, s5, -v212                              // 000000003548: D1CB0034 87500B34
	v_fma_f32 v53, v53, s5, -v212                              // 000000003550: D1CB0035 87500B35
	v_fma_f32 v54, v54, s5, -v212                              // 000000003558: D1CB0036 87500B36
	v_fma_f32 v55, v55, s5, -v212                              // 000000003560: D1CB0037 87500B37
	v_fma_f32 v56, v56, s5, -v212                              // 000000003568: D1CB0038 87500B38
	v_fma_f32 v57, v57, s5, -v212                              // 000000003570: D1CB0039 87500B39
	v_fma_f32 v58, v58, s5, -v212                              // 000000003578: D1CB003A 87500B3A
	v_fma_f32 v59, v59, s5, -v212                              // 000000003580: D1CB003B 87500B3B
	v_mov_b32_e32 v35, 0xffc00000                              // 000000003588: 7E4602FF FFC00000
	v_exp_f32_e32 v44, v44                                     // 000000003590: 7E58412C
	v_exp_f32_e32 v45, v45                                     // 000000003594: 7E5A412D
	v_exp_f32_e32 v46, v46                                     // 000000003598: 7E5C412E
	v_exp_f32_e32 v47, v47                                     // 00000000359C: 7E5E412F
	v_exp_f32_e32 v48, v48                                     // 0000000035A0: 7E604130
	v_exp_f32_e32 v49, v49                                     // 0000000035A4: 7E624131
	v_exp_f32_e32 v50, v50                                     // 0000000035A8: 7E644132
	v_exp_f32_e32 v51, v51                                     // 0000000035AC: 7E664133
	v_exp_f32_e32 v52, v52                                     // 0000000035B0: 7E684134
	v_exp_f32_e32 v53, v53                                     // 0000000035B4: 7E6A4135
	v_exp_f32_e32 v54, v54                                     // 0000000035B8: 7E6C4136
	v_exp_f32_e32 v55, v55                                     // 0000000035BC: 7E6E4137
	v_exp_f32_e32 v56, v56                                     // 0000000035C0: 7E704138
	v_exp_f32_e32 v57, v57                                     // 0000000035C4: 7E724139
	v_exp_f32_e32 v58, v58                                     // 0000000035C8: 7E74413A
	v_exp_f32_e32 v59, v59                                     // 0000000035CC: 7E76413B
	v_mul_f32_e32 v4, v21, v4                                  // 0000000035D0: 0A080915
	v_mov_b32_e32 v35, v44                                     // 0000000035D4: 7E46032C
	v_add_f32_e32 v35, v45, v35                                // 0000000035D8: 0246472D
	v_add_f32_e32 v35, v46, v35                                // 0000000035DC: 0246472E
	v_add_f32_e32 v35, v47, v35                                // 0000000035E0: 0246472F
	v_add_f32_e32 v35, v48, v35                                // 0000000035E4: 02464730
	v_add_f32_e32 v35, v49, v35                                // 0000000035E8: 02464731
	v_add_f32_e32 v35, v50, v35                                // 0000000035EC: 02464732
	v_add_f32_e32 v35, v51, v35                                // 0000000035F0: 02464733
	v_add_f32_e32 v35, v52, v35                                // 0000000035F4: 02464734
	v_add_f32_e32 v35, v53, v35                                // 0000000035F8: 02464735
	v_add_f32_e32 v35, v54, v35                                // 0000000035FC: 02464736
	v_add_f32_e32 v35, v55, v35                                // 000000003600: 02464737
	v_add_f32_e32 v35, v56, v35                                // 000000003604: 02464738
	;; [unrolled: 1-line block ×3, first 2 shown]
	v_add_f32_e32 v35, v58, v35                                // 00000000360C: 0246473A
	v_add_f32_e32 v35, v59, v35                                // 000000003610: 0246473B
	v_add_f32_e32 v4, v35, v4                                  // 000000003614: 02080923
	v_cvt_pk_fp8_f32 v44, v44, v45                             // 000000003618: D2A2002C 00025B2C
	v_cvt_pk_fp8_f32 v44, v46, v47 op_sel:[0,0,1]              // 000000003620: D2A2402C 00025F2E
	v_cvt_pk_fp8_f32 v45, v48, v49                             // 000000003628: D2A2002D 00026330
	v_cvt_pk_fp8_f32 v45, v50, v51 op_sel:[0,0,1]              // 000000003630: D2A2402D 00026732
	v_cvt_pk_fp8_f32 v46, v52, v53                             // 000000003638: D2A2002E 00026B34
	v_cvt_pk_fp8_f32 v46, v54, v55 op_sel:[0,0,1]              // 000000003640: D2A2402E 00026F36
	v_cvt_pk_fp8_f32 v47, v56, v57                             // 000000003648: D2A2002F 00027338
	v_cvt_pk_fp8_f32 v47, v58, v59 op_sel:[0,0,1]              // 000000003650: D2A2402F 0002773A
	ds_write_b128 v43, v[44:47] offset:1024                    // 000000003658: D9BE0400 00002C2B
	s_waitcnt lgkmcnt(0)                                       // 000000003660: BF8CC07F
	s_barrier                                                  // 000000003664: BF8A0000
	ds_read_b128 v[44:47], v42 offset:1024                     // 000000003668: D9FE0400 2C00002A
	ds_read_b128 v[48:51], v42 offset:2048                     // 000000003670: D9FE0800 3000002A
	s_waitcnt lgkmcnt(0)                                       // 000000003678: BF8CC07F
	v_permlane32_swap_b32_e32 v44, v46                         // 00000000367C: 7E58B52E
	v_permlane32_swap_b32_e32 v45, v47                         // 000000003680: 7E5AB52F
	v_swap_b32 v45, v46                                        // 000000003684: 7E5AA32E
	v_permlane32_swap_b32_e32 v48, v50                         // 000000003688: 7E60B532
	v_permlane32_swap_b32_e32 v49, v51                         // 00000000368C: 7E62B533
	v_swap_b32 v49, v50                                        // 000000003690: 7E62A332
	s_addk_i32 s70, 0x1                                        // 000000003694: B7460001
	s_cmp_eq_u32 s71, s70                                      // 000000003698: BF064647
	s_cbranch_scc1 label_35A0                                  // 00000000369C: BF8508C0
	s_waitcnt lgkmcnt(4)                                       // 0000000036A0: BF8CC47F
	v_mfma_f32_32x32x64_f8f6f4 v[60:75], a[72:79], a[0:7], 0   // 0000000036A4: D3AE003C 1A020148
	v_mul_u32_u24_e64 v217, v33, s68                           // 0000000036AC: D10800D9 00008921
	v_add_u32_e32 v217, v217, v1                               // 0000000036B4: 69B203D9
	buffer_load_dword v31, v34, s[24:27], 0 offen              // 0000000036B8: E0501000 80061F22
	ds_read_b64_tr_b8 a[72:73], v9                             // 0000000036C0: DBC40000 48000009
	ds_read_b64_tr_b8 a[74:75], v10                            // 0000000036C8: DBC40000 4A00000A
	ds_read_b64_tr_b8 a[76:77], v9 offset:18432                // 0000000036D0: DBC44800 4C000009
	ds_read_b64_tr_b8 a[78:79], v10 offset:18432               // 0000000036D8: DBC44800 4E00000A
	v_mfma_f32_32x32x64_f8f6f4 v[60:75], a[80:87], a[8:15], v[60:75]// 0000000036E0: D3AE003C 1CF21150
	s_mov_b32 s56, 0x2000                                      // 0000000036E8: BEB800FF 00002000
	s_mul_i32 s57, s7, 0x2400                                  // 0000000036F0: 9239FF07 00002400
	s_add_u32 m0, s56, s57                                     // 0000000036F8: 807C3938
	buffer_load_dwordx4 v217, s[20:23], 0 offen lds            // 0000000036FC: E05D1000 800500D9
	s_add_i32 m0, m0, 0x3c0                                    // 000000003704: 817CFF7C 000003C0
	ds_read_b64_tr_b8 a[80:81], v11                            // 00000000370C: DBC40000 5000000B
	ds_read_b64_tr_b8 a[82:83], v12                            // 000000003714: DBC40000 5200000C
	ds_read_b64_tr_b8 a[84:85], v11 offset:18432               // 00000000371C: DBC44800 5400000B
	ds_read_b64_tr_b8 a[86:87], v12 offset:18432               // 000000003724: DBC44800 5600000C
	v_mfma_f32_32x32x64_f8f6f4 v[60:75], a[88:95], a[16:23], v[60:75]// 00000000372C: D3AE003C 1CF22158
	ds_read_b64_tr_b8 a[88:89], v9 offset:1024                 // 000000003734: DBC40400 58000009
	ds_read_b64_tr_b8 a[90:91], v10 offset:1024                // 00000000373C: DBC40400 5A00000A
	ds_read_b64_tr_b8 a[92:93], v9 offset:19456                // 000000003744: DBC44C00 5C000009
	ds_read_b64_tr_b8 a[94:95], v10 offset:19456               // 00000000374C: DBC44C00 5E00000A
	v_mfma_f32_32x32x64_f8f6f4 v[60:75], a[96:103], a[24:31], v[60:75]// 000000003754: D3AE003C 1CF23160
	buffer_load_dwordx4 v217, s[20:23], 0 offen offset:64 lds  // 00000000375C: E05D1040 800500D9
	s_add_i32 m0, m0, 0x3c0                                    // 000000003764: 817CFF7C 000003C0
	ds_read_b64_tr_b8 a[96:97], v11 offset:1024                // 00000000376C: DBC40400 6000000B
	ds_read_b64_tr_b8 a[98:99], v12 offset:1024                // 000000003774: DBC40400 6200000C
	ds_read_b64_tr_b8 a[100:101], v11 offset:19456             // 00000000377C: DBC44C00 6400000B
	ds_read_b64_tr_b8 a[102:103], v12 offset:19456             // 000000003784: DBC44C00 6600000C
	v_mfma_f32_32x32x64_f8f6f4 v[60:75], a[104:111], a[32:39], v[60:75]// 00000000378C: D3AE003C 1CF24168
	ds_read_b64_tr_b8 a[104:105], v9 offset:2048               // 000000003794: DBC40800 68000009
	ds_read_b64_tr_b8 a[106:107], v10 offset:2048              // 00000000379C: DBC40800 6A00000A
	ds_read_b64_tr_b8 a[108:109], v9 offset:20480              // 0000000037A4: DBC45000 6C000009
	ds_read_b64_tr_b8 a[110:111], v10 offset:20480             // 0000000037AC: DBC45000 6E00000A
	v_mfma_f32_32x32x64_f8f6f4 v[60:75], a[112:119], a[40:47], v[60:75]// 0000000037B4: D3AE003C 1CF25170
	buffer_load_dwordx4 v217, s[20:23], 0 offen offset:128 lds // 0000000037BC: E05D1080 800500D9
	s_add_i32 m0, m0, 0x3c0                                    // 0000000037C4: 817CFF7C 000003C0
	ds_read_b64_tr_b8 a[112:113], v11 offset:2048              // 0000000037CC: DBC40800 7000000B
	ds_read_b64_tr_b8 a[114:115], v12 offset:2048              // 0000000037D4: DBC40800 7200000C
	ds_read_b64_tr_b8 a[116:117], v11 offset:20480             // 0000000037DC: DBC45000 7400000B
	ds_read_b64_tr_b8 a[118:119], v12 offset:20480             // 0000000037E4: DBC45000 7600000C
	v_mfma_f32_32x32x64_f8f6f4 v[60:75], a[120:127], a[48:55], v[60:75]// 0000000037EC: D3AE003C 1CF26178
	ds_read_b64_tr_b8 a[120:121], v9 offset:3072               // 0000000037F4: DBC40C00 78000009
	ds_read_b64_tr_b8 a[122:123], v10 offset:3072              // 0000000037FC: DBC40C00 7A00000A
	ds_read_b64_tr_b8 a[124:125], v9 offset:21504              // 000000003804: DBC45400 7C000009
	ds_read_b64_tr_b8 a[126:127], v10 offset:21504             // 00000000380C: DBC45400 7E00000A
	v_mfma_f32_32x32x64_f8f6f4 v[60:75], a[128:135], a[56:63], v[60:75]// 000000003814: D3AE003C 1CF27180
	buffer_load_dwordx4 v217, s[20:23], 0 offen offset:192 lds // 00000000381C: E05D10C0 800500D9
	s_add_i32 m0, m0, 0x3c0                                    // 000000003824: 817CFF7C 000003C0
	ds_read_b64_tr_b8 a[128:129], v11 offset:3072              // 00000000382C: DBC40C00 8000000B
	ds_read_b64_tr_b8 a[130:131], v12 offset:3072              // 000000003834: DBC40C00 8200000C
	ds_read_b64_tr_b8 a[132:133], v11 offset:21504             // 00000000383C: DBC45400 8400000B
	ds_read_b64_tr_b8 a[134:135], v12 offset:21504             // 000000003844: DBC45400 8600000C
	v_mfma_f32_32x32x64_f8f6f4 v[60:75], a[136:143], a[64:71], v[60:75]// 00000000384C: D3AE003C 1CF28188
	buffer_load_dwordx4 v217, s[20:23], 0 offen offset:256 lds // 000000003854: E05D1100 800500D9
	s_add_i32 m0, m0, 0x3c0                                    // 00000000385C: 817CFF7C 000003C0
	buffer_load_dwordx4 v217, s[20:23], 0 offen offset:320 lds // 000000003864: E05D1140 800500D9
	s_add_i32 m0, m0, 0x3c0                                    // 00000000386C: 817CFF7C 000003C0
	buffer_load_dwordx4 v217, s[20:23], 0 offen offset:384 lds // 000000003874: E05D1180 800500D9
	s_add_i32 m0, m0, 0x3c0                                    // 00000000387C: 817CFF7C 000003C0
	buffer_load_dwordx4 v217, s[20:23], 0 offen offset:448 lds // 000000003884: E05D11C0 800500D9
	s_add_i32 m0, m0, 0x3c0                                    // 00000000388C: 817CFF7C 000003C0
	buffer_load_dwordx4 v217, s[20:23], 0 offen offset:512 lds // 000000003894: E05D1200 800500D9
	s_add_i32 m0, m0, 0x3c0                                    // 00000000389C: 817CFF7C 000003C0
	v_add_u32_e32 v34, s73, v34                                // 0000000038A4: 68444449
	s_addk_i32 s70, 0x1                                        // 0000000038A8: B7460001
	s_cmp_eq_u32 s71, s70                                      // 0000000038AC: BF064647
	s_cbranch_scc1 label_3778                                  // 0000000038B0: BF8508B1
	s_cmp_lt_i32 s7, 2                                         // 0000000038B4: BF048207
	s_cbranch_scc0 label_319C                                  // 0000000038B8: BF840738

00000000000038bc <label_14BC>:
	v_mul_u32_u24_e64 v217, v30, s68                           // 0000000038BC: D10800D9 0000891E
	v_add_u32_e32 v217, v217, v1                               // 0000000038C4: 69B203D9
	s_waitcnt vmcnt(10)                                        // 0000000038C8: BF8C0F7A
	s_barrier                                                  // 0000000038CC: BF8A0000
	s_waitcnt lgkmcnt(8)                                       // 0000000038D0: BF8CC87F
	v_mfma_f32_32x32x64_f8f6f4 v[76:91], a[72:79], v[44:51], v[76:91]// 0000000038D4: D3AE004C 0D325948
	ds_read_b128 a[72:75], v28                                 // 0000000038DC: DBFE0000 4800001C
	ds_read_b128 a[76:79], v29                                 // 0000000038E4: DBFE0000 4C00001D
	v_mov_b32_e32 v213, v60                                    // 0000000038EC: 7FAA033C
	v_max3_f32 v213, v60, v61, v213                            // 0000000038F0: D1D300D5 07567B3C
	v_max3_f32 v213, v62, v63, v213                            // 0000000038F8: D1D300D5 07567F3E
	v_max3_f32 v213, v64, v65, v213                            // 000000003900: D1D300D5 07568340
	v_max3_f32 v213, v66, v67, v213                            // 000000003908: D1D300D5 07568742
	v_max3_f32 v213, v68, v69, v213                            // 000000003910: D1D300D5 07568B44
	v_max3_f32 v213, v70, v71, v213                            // 000000003918: D1D300D5 07568F46
	v_max3_f32 v213, v72, v73, v213                            // 000000003920: D1D300D5 07569348
	v_max3_f32 v213, v74, v75, v213                            // 000000003928: D1D300D5 0756974A
	v_mov_b32_e32 v35, v213                                    // 000000003930: 7E4603D5
	v_mov_b32_e32 v36, v213                                    // 000000003934: 7E4803D5
	s_nop 0                                                    // 000000003938: BF800000
	v_mfma_f32_32x32x64_f8f6f4 v[92:107], a[80:87], v[44:51], v[92:107]// 00000000393C: D3AE005C 0D725950
	v_permlane32_swap_b32_e32 v35, v36                         // 000000003944: 7E46B524
	v_max3_f32 v213, v35, v36, v213                            // 000000003948: D1D300D5 07564923
	ds_write_b32 v41, v213                                     // 000000003950: D81A0000 0000D529
	s_mov_b32 s56, 0xb000                                      // 000000003958: BEB800FF 0000B000
	s_mul_i32 s57, s7, 0x2400                                  // 000000003960: 9239FF07 00002400
	s_add_u32 m0, s56, s57                                     // 000000003968: 807C3938
	buffer_load_dwordx4 v217, s[20:23], 0 offen lds            // 00000000396C: E05D1000 800500D9
	s_add_i32 m0, m0, 0x3c0                                    // 000000003974: 817CFF7C 000003C0
	buffer_load_dwordx4 v217, s[20:23], 0 offen offset:64 lds  // 00000000397C: E05D1040 800500D9
	s_add_i32 m0, m0, 0x3c0                                    // 000000003984: 817CFF7C 000003C0
	s_waitcnt lgkmcnt(0)                                       // 00000000398C: BF8CC07F
	s_barrier                                                  // 000000003990: BF8A0000
	v_mfma_f32_32x32x64_f8f6f4 v[108:123], a[88:95], v[44:51], v[108:123]// 000000003994: D3AE006C 0DB25958
	ds_read_b32 v35, v40                                       // 00000000399C: D86C0000 23000028
	ds_read_b32 v36, v40 offset:256                            // 0000000039A4: D86C0100 24000028
	s_waitcnt lgkmcnt(0)                                       // 0000000039AC: BF8CC07F
	v_max3_f32 v213, v35, v36, v213                            // 0000000039B0: D1D300D5 07564923
	v_mov_b32_e32 v35, 0xff800000                              // 0000000039B8: 7E4602FF FF800000
	v_cmp_eq_u32_e64 s[36:37], v35, v2                         // 0000000039C0: D0CA0024 00020523
	v_max_f32_e32 v216, v213, v2                               // 0000000039C8: 17B005D5
	v_sub_f32_e32 v21, v2, v216                                // 0000000039CC: 042BB102
	v_cndmask_b32_e64 v21, v21, 0, s[36:37]                    // 0000000039D0: D1000015 00910115
	v_mfma_f32_32x32x64_f8f6f4 v[124:139], a[96:103], v[44:51], v[124:139]// 0000000039D8: D3AE007C 0DF25960
	buffer_load_dwordx4 v217, s[20:23], 0 offen offset:128 lds // 0000000039E0: E05D1080 800500D9
	s_add_i32 m0, m0, 0x3c0                                    // 0000000039E8: 817CFF7C 000003C0
	v_mov_b32_e32 v2, v216                                     // 0000000039F0: 7E0403D8
	v_mul_f32_e32 v212, s5, v216                               // 0000000039F4: 0BA9B005
	v_mul_f32_e32 v21, s5, v21                                 // 0000000039F8: 0A2A2A05
	v_exp_f32_e32 v21, v21                                     // 0000000039FC: 7E2A4115
	v_fma_f32 v60, v60, s5, -v212                              // 000000003A00: D1CB003C 87500B3C
	v_fma_f32 v61, v61, s5, -v212                              // 000000003A08: D1CB003D 87500B3D
	v_fma_f32 v62, v62, s5, -v212                              // 000000003A10: D1CB003E 87500B3E
	v_fma_f32 v63, v63, s5, -v212                              // 000000003A18: D1CB003F 87500B3F
	v_fma_f32 v64, v64, s5, -v212                              // 000000003A20: D1CB0040 87500B40
	v_fma_f32 v65, v65, s5, -v212                              // 000000003A28: D1CB0041 87500B41
	v_fma_f32 v66, v66, s5, -v212                              // 000000003A30: D1CB0042 87500B42
	v_fma_f32 v67, v67, s5, -v212                              // 000000003A38: D1CB0043 87500B43
	v_fma_f32 v68, v68, s5, -v212                              // 000000003A40: D1CB0044 87500B44
	v_mfma_f32_32x32x64_f8f6f4 v[140:155], a[104:111], v[44:51], v[140:155]// 000000003A48: D3AE008C 0E325968
	ds_read_b128 a[80:83], v28 offset:1024                     // 000000003A50: DBFE0400 5000001C
	ds_read_b128 a[84:87], v29 offset:1024                     // 000000003A58: DBFE0400 5400001D
	ds_read_b128 a[88:91], v28 offset:2048                     // 000000003A60: DBFE0800 5800001C
	ds_read_b128 a[92:95], v29 offset:2048                     // 000000003A68: DBFE0800 5C00001D
	ds_read_b128 a[96:99], v28 offset:3072                     // 000000003A70: DBFE0C00 6000001C
	ds_read_b128 a[100:103], v29 offset:3072                   // 000000003A78: DBFE0C00 6400001D
	v_fma_f32 v69, v69, s5, -v212                              // 000000003A80: D1CB0045 87500B45
	v_fma_f32 v70, v70, s5, -v212                              // 000000003A88: D1CB0046 87500B46
	v_fma_f32 v71, v71, s5, -v212                              // 000000003A90: D1CB0047 87500B47
	v_fma_f32 v72, v72, s5, -v212                              // 000000003A98: D1CB0048 87500B48
	v_fma_f32 v73, v73, s5, -v212                              // 000000003AA0: D1CB0049 87500B49
	v_fma_f32 v74, v74, s5, -v212                              // 000000003AA8: D1CB004A 87500B4A
	v_fma_f32 v75, v75, s5, -v212                              // 000000003AB0: D1CB004B 87500B4B
	v_exp_f32_e32 v60, v60                                     // 000000003AB8: 7E78413C
	v_exp_f32_e32 v61, v61                                     // 000000003ABC: 7E7A413D
	v_mfma_f32_32x32x64_f8f6f4 v[156:171], a[112:119], v[44:51], v[156:171]// 000000003AC0: D3AE009C 0E725970
	buffer_load_dwordx4 v217, s[20:23], 0 offen offset:192 lds // 000000003AC8: E05D10C0 800500D9
	s_add_i32 m0, m0, 0x3c0                                    // 000000003AD0: 817CFF7C 000003C0
	v_exp_f32_e32 v62, v62                                     // 000000003AD8: 7E7C413E
	v_exp_f32_e32 v63, v63                                     // 000000003ADC: 7E7E413F
	v_exp_f32_e32 v64, v64                                     // 000000003AE0: 7E804140
	v_exp_f32_e32 v65, v65                                     // 000000003AE4: 7E824141
	v_exp_f32_e32 v66, v66                                     // 000000003AE8: 7E844142
	v_exp_f32_e32 v67, v67                                     // 000000003AEC: 7E864143
	v_exp_f32_e32 v68, v68                                     // 000000003AF0: 7E884144
	v_mfma_f32_32x32x64_f8f6f4 v[172:187], a[120:127], v[44:51], v[172:187]// 000000003AF4: D3AE00AC 0EB25978
	ds_read_b128 a[104:107], v28 offset:4096                   // 000000003AFC: DBFE1000 6800001C
	ds_read_b128 a[108:111], v29 offset:4096                   // 000000003B04: DBFE1000 6C00001D
	ds_read_b128 a[112:115], v28 offset:5120                   // 000000003B0C: DBFE1400 7000001C
	ds_read_b128 a[116:119], v29 offset:5120                   // 000000003B14: DBFE1400 7400001D
	ds_read_b128 a[120:123], v28 offset:6144                   // 000000003B1C: DBFE1800 7800001C
	ds_read_b128 a[124:127], v29 offset:6144                   // 000000003B24: DBFE1800 7C00001D
	v_exp_f32_e32 v69, v69                                     // 000000003B2C: 7E8A4145
	v_exp_f32_e32 v70, v70                                     // 000000003B30: 7E8C4146
	v_exp_f32_e32 v71, v71                                     // 000000003B34: 7E8E4147
	v_exp_f32_e32 v72, v72                                     // 000000003B38: 7E904148
	v_exp_f32_e32 v73, v73                                     // 000000003B3C: 7E924149
	v_mfma_f32_32x32x64_f8f6f4 v[188:203], a[128:135], v[44:51], v[188:203]// 000000003B40: D3AE00BC 0EF25980
	ds_read_b128 a[128:131], v28 offset:7168                   // 000000003B48: DBFE1C00 8000001C
	ds_read_b128 a[132:135], v29 offset:7168                   // 000000003B50: DBFE1C00 8400001D
	ds_read_b128 a[136:139], v28 offset:8192                   // 000000003B58: DBFE2000 8800001C
	ds_read_b128 a[140:143], v29 offset:8192                   // 000000003B60: DBFE2000 8C00001D
	v_exp_f32_e32 v74, v74                                     // 000000003B68: 7E94414A
	v_exp_f32_e32 v75, v75                                     // 000000003B6C: 7E96414B
	v_mul_f32_e32 v4, v21, v4                                  // 000000003B70: 0A080915
	v_mov_b32_e32 v35, v60                                     // 000000003B74: 7E46033C
	v_add_f32_e32 v35, v61, v35                                // 000000003B78: 0246473D
	v_add_f32_e32 v35, v62, v35                                // 000000003B7C: 0246473E
	v_add_f32_e32 v35, v63, v35                                // 000000003B80: 0246473F
	v_add_f32_e32 v35, v64, v35                                // 000000003B84: 02464740
	v_add_f32_e32 v35, v65, v35                                // 000000003B88: 02464741
	v_add_f32_e32 v35, v66, v35                                // 000000003B8C: 02464742
	v_add_f32_e32 v35, v67, v35                                // 000000003B90: 02464743
	v_add_f32_e32 v35, v68, v35                                // 000000003B94: 02464744
	v_add_f32_e32 v35, v69, v35                                // 000000003B98: 02464745
	v_add_f32_e32 v35, v70, v35                                // 000000003B9C: 02464746
	v_add_f32_e32 v35, v71, v35                                // 000000003BA0: 02464747
	v_add_f32_e32 v35, v72, v35                                // 000000003BA4: 02464748
	v_add_f32_e32 v35, v73, v35                                // 000000003BA8: 02464749
	v_add_f32_e32 v35, v74, v35                                // 000000003BAC: 0246474A
	v_add_f32_e32 v35, v75, v35                                // 000000003BB0: 0246474B
	v_add_f32_e32 v4, v35, v4                                  // 000000003BB4: 02080923
	v_cvt_pk_fp8_f32 v60, v60, v61                             // 000000003BB8: D2A2003C 00027B3C
	v_cvt_pk_fp8_f32 v60, v62, v63 op_sel:[0,0,1]              // 000000003BC0: D2A2403C 00027F3E
	v_cvt_pk_fp8_f32 v61, v64, v65                             // 000000003BC8: D2A2003D 00028340
	v_cvt_pk_fp8_f32 v61, v66, v67 op_sel:[0,0,1]              // 000000003BD0: D2A2403D 00028742
	v_cvt_pk_fp8_f32 v62, v68, v69                             // 000000003BD8: D2A2003E 00028B44
	v_cvt_pk_fp8_f32 v62, v70, v71 op_sel:[0,0,1]              // 000000003BE0: D2A2403E 00028F46
	v_cvt_pk_fp8_f32 v63, v72, v73                             // 000000003BE8: D2A2003F 00029348
	v_cvt_pk_fp8_f32 v63, v74, v75 op_sel:[0,0,1]              // 000000003BF0: D2A2403F 0002974A
	s_waitcnt lgkmcnt(8)                                       // 000000003BF8: BF8CC87F
	v_mfma_f32_32x32x64_f8f6f4 v[44:59], a[72:79], a[0:7], 0   // 000000003BFC: D3AE002C 1A020148
	ds_write_b128 v43, v[60:63] offset:1024                    // 000000003C04: D9BE0400 00003C2B
	buffer_load_dword v32, v34, s[24:27], 0 offen              // 000000003C0C: E0501000 80062022
	buffer_load_dwordx4 v217, s[20:23], 0 offen offset:256 lds // 000000003C14: E05D1100 800500D9
	s_add_i32 m0, m0, 0x3c0                                    // 000000003C1C: 817CFF7C 000003C0
	v_mul_f32_e32 v76, v21, v76                                // 000000003C24: 0A989915
	v_mul_f32_e32 v77, v21, v77                                // 000000003C28: 0A9A9B15
	v_mul_f32_e32 v78, v21, v78                                // 000000003C2C: 0A9C9D15
	v_mul_f32_e32 v79, v21, v79                                // 000000003C30: 0A9E9F15
	v_mul_f32_e32 v80, v21, v80                                // 000000003C34: 0AA0A115
	v_mul_f32_e32 v81, v21, v81                                // 000000003C38: 0AA2A315
	v_mul_f32_e32 v82, v21, v82                                // 000000003C3C: 0AA4A515
	v_mul_f32_e32 v83, v21, v83                                // 000000003C40: 0AA6A715
	v_mul_f32_e32 v84, v21, v84                                // 000000003C44: 0AA8A915
	v_mfma_f32_32x32x64_f8f6f4 v[44:59], a[80:87], a[8:15], v[44:59]// 000000003C48: D3AE002C 1CB21150
	ds_read_b64_tr_b8 a[72:73], v13                            // 000000003C50: DBC40000 4800000D
	ds_read_b64_tr_b8 a[74:75], v14                            // 000000003C58: DBC40000 4A00000E
	ds_read_b64_tr_b8 a[76:77], v13 offset:18432               // 000000003C60: DBC44800 4C00000D
	ds_read_b64_tr_b8 a[78:79], v14 offset:18432               // 000000003C68: DBC44800 4E00000E
	ds_read_b64_tr_b8 a[80:81], v15                            // 000000003C70: DBC40000 5000000F
	ds_read_b64_tr_b8 a[82:83], v16                            // 000000003C78: DBC40000 52000010
	ds_read_b64_tr_b8 a[84:85], v15 offset:18432               // 000000003C80: DBC44800 5400000F
	ds_read_b64_tr_b8 a[86:87], v16 offset:18432               // 000000003C88: DBC44800 56000010
	v_mul_f32_e32 v85, v21, v85                                // 000000003C90: 0AAAAB15
	v_mul_f32_e32 v86, v21, v86                                // 000000003C94: 0AACAD15
	v_mul_f32_e32 v87, v21, v87                                // 000000003C98: 0AAEAF15
	v_mul_f32_e32 v88, v21, v88                                // 000000003C9C: 0AB0B115
	v_mul_f32_e32 v89, v21, v89                                // 000000003CA0: 0AB2B315
	v_mul_f32_e32 v90, v21, v90                                // 000000003CA4: 0AB4B515
	v_mul_f32_e32 v91, v21, v91                                // 000000003CA8: 0AB6B715
	v_mul_f32_e32 v92, v21, v92                                // 000000003CAC: 0AB8B915
	v_mul_f32_e32 v93, v21, v93                                // 000000003CB0: 0ABABB15
	v_mul_f32_e32 v94, v21, v94                                // 000000003CB4: 0ABCBD15
	v_mul_f32_e32 v95, v21, v95                                // 000000003CB8: 0ABEBF15
	v_mul_f32_e32 v96, v21, v96                                // 000000003CBC: 0AC0C115
	s_waitcnt lgkmcnt(0)                                       // 000000003CC0: BF8CC07F
	s_barrier                                                  // 000000003CC4: BF8A0000
	v_mfma_f32_32x32x64_f8f6f4 v[44:59], a[88:95], a[16:23], v[44:59]// 000000003CC8: D3AE002C 1CB22158
	ds_read_b128 v[60:63], v42 offset:1024                     // 000000003CD0: D9FE0400 3C00002A
	ds_read_b128 v[64:67], v42 offset:2048                     // 000000003CD8: D9FE0800 4000002A
	buffer_load_dwordx4 v217, s[20:23], 0 offen offset:320 lds // 000000003CE0: E05D1140 800500D9
	s_add_i32 m0, m0, 0x3c0                                    // 000000003CE8: 817CFF7C 000003C0
	v_mul_f32_e32 v97, v21, v97                                // 000000003CF0: 0AC2C315
	v_mul_f32_e32 v98, v21, v98                                // 000000003CF4: 0AC4C515
	v_mul_f32_e32 v99, v21, v99                                // 000000003CF8: 0AC6C715
	v_mul_f32_e32 v100, v21, v100                              // 000000003CFC: 0AC8C915
	v_mul_f32_e32 v101, v21, v101                              // 000000003D00: 0ACACB15
	v_mul_f32_e32 v102, v21, v102                              // 000000003D04: 0ACCCD15
	v_mul_f32_e32 v103, v21, v103                              // 000000003D08: 0ACECF15
	v_mul_f32_e32 v104, v21, v104                              // 000000003D0C: 0AD0D115
	v_mul_f32_e32 v105, v21, v105                              // 000000003D10: 0AD2D315
	v_mul_f32_e32 v106, v21, v106                              // 000000003D14: 0AD4D515
	v_mul_f32_e32 v107, v21, v107                              // 000000003D18: 0AD6D715
	v_mul_f32_e32 v108, v21, v108                              // 000000003D1C: 0AD8D915
	v_add_u32_e32 v34, s73, v34                                // 000000003D20: 68444449
	v_mfma_f32_32x32x64_f8f6f4 v[44:59], a[96:103], a[24:31], v[44:59]// 000000003D24: D3AE002C 1CB23160
	ds_read_b64_tr_b8 a[88:89], v13 offset:1024                // 000000003D2C: DBC40400 5800000D
	ds_read_b64_tr_b8 a[90:91], v14 offset:1024                // 000000003D34: DBC40400 5A00000E
	ds_read_b64_tr_b8 a[92:93], v13 offset:19456               // 000000003D3C: DBC44C00 5C00000D
	ds_read_b64_tr_b8 a[94:95], v14 offset:19456               // 000000003D44: DBC44C00 5E00000E
	ds_read_b64_tr_b8 a[96:97], v15 offset:1024                // 000000003D4C: DBC40400 6000000F
	ds_read_b64_tr_b8 a[98:99], v16 offset:1024                // 000000003D54: DBC40400 62000010
	ds_read_b64_tr_b8 a[100:101], v15 offset:19456             // 000000003D5C: DBC44C00 6400000F
	ds_read_b64_tr_b8 a[102:103], v16 offset:19456             // 000000003D64: DBC44C00 66000010
	v_mul_f32_e32 v109, v21, v109                              // 000000003D6C: 0ADADB15
	v_mul_f32_e32 v110, v21, v110                              // 000000003D70: 0ADCDD15
	v_mul_f32_e32 v111, v21, v111                              // 000000003D74: 0ADEDF15
	v_mul_f32_e32 v112, v21, v112                              // 000000003D78: 0AE0E115
	v_mul_f32_e32 v113, v21, v113                              // 000000003D7C: 0AE2E315
	v_mul_f32_e32 v114, v21, v114                              // 000000003D80: 0AE4E515
	v_mul_f32_e32 v115, v21, v115                              // 000000003D84: 0AE6E715
	v_mul_f32_e32 v116, v21, v116                              // 000000003D88: 0AE8E915
	v_mul_f32_e32 v117, v21, v117                              // 000000003D8C: 0AEAEB15
	v_mul_f32_e32 v118, v21, v118                              // 000000003D90: 0AECED15
	v_mul_f32_e32 v119, v21, v119                              // 000000003D94: 0AEEEF15
	v_mul_f32_e32 v120, v21, v120                              // 000000003D98: 0AF0F115
	v_mfma_f32_32x32x64_f8f6f4 v[44:59], a[104:111], a[32:39], v[44:59]// 000000003D9C: D3AE002C 1CB24168
	buffer_load_dwordx4 v217, s[20:23], 0 offen offset:384 lds // 000000003DA4: E05D1180 800500D9
	s_add_i32 m0, m0, 0x3c0                                    // 000000003DAC: 817CFF7C 000003C0
	v_mul_f32_e32 v121, v21, v121                              // 000000003DB4: 0AF2F315
	v_mul_f32_e32 v122, v21, v122                              // 000000003DB8: 0AF4F515
	v_mul_f32_e32 v123, v21, v123                              // 000000003DBC: 0AF6F715
	v_mul_f32_e32 v124, v21, v124                              // 000000003DC0: 0AF8F915
	v_mul_f32_e32 v125, v21, v125                              // 000000003DC4: 0AFAFB15
	v_mul_f32_e32 v126, v21, v126                              // 000000003DC8: 0AFCFD15
	v_mul_f32_e32 v127, v21, v127                              // 000000003DCC: 0AFEFF15
	v_mul_f32_e32 v128, v21, v128                              // 000000003DD0: 0B010115
	v_mul_f32_e32 v129, v21, v129                              // 000000003DD4: 0B030315
	v_mul_f32_e32 v130, v21, v130                              // 000000003DD8: 0B050515
	v_mul_f32_e32 v131, v21, v131                              // 000000003DDC: 0B070715
	v_mul_f32_e32 v132, v21, v132                              // 000000003DE0: 0B090915
	v_mfma_f32_32x32x64_f8f6f4 v[44:59], a[112:119], a[40:47], v[44:59]// 000000003DE4: D3AE002C 1CB25170
	s_waitcnt lgkmcnt(0)                                       // 000000003DEC: BF8CC07F
	ds_read_b64_tr_b8 a[104:105], v13 offset:2048              // 000000003DF0: DBC40800 6800000D
	ds_read_b64_tr_b8 a[106:107], v14 offset:2048              // 000000003DF8: DBC40800 6A00000E
	ds_read_b64_tr_b8 a[108:109], v13 offset:20480             // 000000003E00: DBC45000 6C00000D
	ds_read_b64_tr_b8 a[110:111], v14 offset:20480             // 000000003E08: DBC45000 6E00000E
	ds_read_b64_tr_b8 a[112:113], v15 offset:2048              // 000000003E10: DBC40800 7000000F
	ds_read_b64_tr_b8 a[114:115], v16 offset:2048              // 000000003E18: DBC40800 72000010
	ds_read_b64_tr_b8 a[116:117], v15 offset:20480             // 000000003E20: DBC45000 7400000F
	ds_read_b64_tr_b8 a[118:119], v16 offset:20480             // 000000003E28: DBC45000 76000010
	v_mul_f32_e32 v133, v21, v133                              // 000000003E30: 0B0B0B15
	v_mul_f32_e32 v134, v21, v134                              // 000000003E34: 0B0D0D15
	v_mul_f32_e32 v135, v21, v135                              // 000000003E38: 0B0F0F15
	v_mul_f32_e32 v136, v21, v136                              // 000000003E3C: 0B111115
	v_mul_f32_e32 v137, v21, v137                              // 000000003E40: 0B131315
	v_mul_f32_e32 v138, v21, v138                              // 000000003E44: 0B151515
	v_mul_f32_e32 v139, v21, v139                              // 000000003E48: 0B171715
	v_mfma_f32_32x32x64_f8f6f4 v[44:59], a[120:127], a[48:55], v[44:59]// 000000003E4C: D3AE002C 1CB26178
	buffer_load_dwordx4 v217, s[20:23], 0 offen offset:448 lds // 000000003E54: E05D11C0 800500D9
	s_add_i32 m0, m0, 0x3c0                                    // 000000003E5C: 817CFF7C 000003C0
	v_permlane32_swap_b32_e32 v60, v62                         // 000000003E64: 7E78B53E
	v_permlane32_swap_b32_e32 v61, v63                         // 000000003E68: 7E7AB53F
	v_swap_b32 v61, v62                                        // 000000003E6C: 7E7AA33E
	v_permlane32_swap_b32_e32 v64, v66                         // 000000003E70: 7E80B542
	v_permlane32_swap_b32_e32 v65, v67                         // 000000003E74: 7E82B543
	v_swap_b32 v65, v66                                        // 000000003E78: 7E82A342
	v_mfma_f32_32x32x64_f8f6f4 v[44:59], a[128:135], a[56:63], v[44:59]// 000000003E7C: D3AE002C 1CB27180
	ds_read_b64_tr_b8 a[120:121], v13 offset:3072              // 000000003E84: DBC40C00 7800000D
	ds_read_b64_tr_b8 a[122:123], v14 offset:3072              // 000000003E8C: DBC40C00 7A00000E
	ds_read_b64_tr_b8 a[124:125], v13 offset:21504             // 000000003E94: DBC45400 7C00000D
	ds_read_b64_tr_b8 a[126:127], v14 offset:21504             // 000000003E9C: DBC45400 7E00000E
	ds_read_b64_tr_b8 a[128:129], v15 offset:3072              // 000000003EA4: DBC40C00 8000000F
	ds_read_b64_tr_b8 a[130:131], v16 offset:3072              // 000000003EAC: DBC40C00 82000010
	ds_read_b64_tr_b8 a[132:133], v15 offset:21504             // 000000003EB4: DBC45400 8400000F
	ds_read_b64_tr_b8 a[134:135], v16 offset:21504             // 000000003EBC: DBC45400 86000010
	v_mov_b32_e32 v36, v21                                     // 000000003EC4: 7E480315
	v_mov_b32_e32 v37, v21                                     // 000000003EC8: 7E4A0315
	v_pk_mul_f32 v[140:141], v[36:37], v[140:141]              // 000000003ECC: D3B1408C 18031924
	v_pk_mul_f32 v[142:143], v[36:37], v[142:143]              // 000000003ED4: D3B1408E 18031D24
	v_pk_mul_f32 v[144:145], v[36:37], v[144:145]              // 000000003EDC: D3B14090 18032124
	v_pk_mul_f32 v[146:147], v[36:37], v[146:147]              // 000000003EE4: D3B14092 18032524
	v_pk_mul_f32 v[148:149], v[36:37], v[148:149]              // 000000003EEC: D3B14094 18032924
	v_pk_mul_f32 v[150:151], v[36:37], v[150:151]              // 000000003EF4: D3B14096 18032D24
	v_pk_mul_f32 v[152:153], v[36:37], v[152:153]              // 000000003EFC: D3B14098 18033124
	v_pk_mul_f32 v[154:155], v[36:37], v[154:155]              // 000000003F04: D3B1409A 18033524
	v_pk_mul_f32 v[156:157], v[36:37], v[156:157]              // 000000003F0C: D3B1409C 18033924
	v_pk_mul_f32 v[158:159], v[36:37], v[158:159]              // 000000003F14: D3B1409E 18033D24
	v_pk_mul_f32 v[160:161], v[36:37], v[160:161]              // 000000003F1C: D3B140A0 18034124
	v_pk_mul_f32 v[162:163], v[36:37], v[162:163]              // 000000003F24: D3B140A2 18034524
	v_pk_mul_f32 v[164:165], v[36:37], v[164:165]              // 000000003F2C: D3B140A4 18034924
	v_pk_mul_f32 v[166:167], v[36:37], v[166:167]              // 000000003F34: D3B140A6 18034D24
	v_pk_mul_f32 v[168:169], v[36:37], v[168:169]              // 000000003F3C: D3B140A8 18035124
	v_pk_mul_f32 v[170:171], v[36:37], v[170:171]              // 000000003F44: D3B140AA 18035524
	v_pk_mul_f32 v[172:173], v[36:37], v[172:173]              // 000000003F4C: D3B140AC 18035924
	v_pk_mul_f32 v[174:175], v[36:37], v[174:175]              // 000000003F54: D3B140AE 18035D24
	v_pk_mul_f32 v[176:177], v[36:37], v[176:177]              // 000000003F5C: D3B140B0 18036124
	v_pk_mul_f32 v[178:179], v[36:37], v[178:179]              // 000000003F64: D3B140B2 18036524
	v_pk_mul_f32 v[180:181], v[36:37], v[180:181]              // 000000003F6C: D3B140B4 18036924
	v_pk_mul_f32 v[182:183], v[36:37], v[182:183]              // 000000003F74: D3B140B6 18036D24
	v_pk_mul_f32 v[184:185], v[36:37], v[184:185]              // 000000003F7C: D3B140B8 18037124
	v_pk_mul_f32 v[186:187], v[36:37], v[186:187]              // 000000003F84: D3B140BA 18037524
	v_pk_mul_f32 v[188:189], v[36:37], v[188:189]              // 000000003F8C: D3B140BC 18037924
	v_pk_mul_f32 v[190:191], v[36:37], v[190:191]              // 000000003F94: D3B140BE 18037D24
	v_pk_mul_f32 v[192:193], v[36:37], v[192:193]              // 000000003F9C: D3B140C0 18038124
	v_pk_mul_f32 v[194:195], v[36:37], v[194:195]              // 000000003FA4: D3B140C2 18038524
	v_pk_mul_f32 v[196:197], v[36:37], v[196:197]              // 000000003FAC: D3B140C4 18038924
	v_pk_mul_f32 v[198:199], v[36:37], v[198:199]              // 000000003FB4: D3B140C6 18038D24
	v_pk_mul_f32 v[200:201], v[36:37], v[200:201]              // 000000003FBC: D3B140C8 18039124
	v_pk_mul_f32 v[202:203], v[36:37], v[202:203]              // 000000003FC4: D3B140CA 18039524
	v_mfma_f32_32x32x64_f8f6f4 v[44:59], a[136:143], a[64:71], v[44:59]// 000000003FCC: D3AE002C 1CB28188
	buffer_load_dwordx4 v217, s[20:23], 0 offen offset:512 lds // 000000003FD4: E05D1200 800500D9
	s_add_i32 m0, m0, 0x3c0                                    // 000000003FDC: 817CFF7C 000003C0
	s_addk_i32 s70, 0x1                                        // 000000003FE4: B7460001
	s_cmp_lt_i32 s70, s71                                      // 000000003FE8: BF044746
	s_cbranch_scc0 label_3190                                  // 000000003FEC: BF840568
	v_mul_u32_u24_e64 v217, v31, s68                           // 000000003FF0: D10800D9 0000891F
	v_add_u32_e32 v217, v217, v1                               // 000000003FF8: 69B203D9
	s_waitcnt vmcnt(10)                                        // 000000003FFC: BF8C0F7A
	s_barrier                                                  // 000000004000: BF8A0000
	s_waitcnt lgkmcnt(8)                                       // 000000004004: BF8CC87F
	v_mfma_f32_32x32x64_f8f6f4 v[76:91], a[72:79], v[60:67], v[76:91]// 000000004008: D3AE004C 0D327948
	ds_read_b128 a[72:75], v22                                 // 000000004010: DBFE0000 48000016
	ds_read_b128 a[76:79], v23                                 // 000000004018: DBFE0000 4C000017
	v_mov_b32_e32 v213, v44                                    // 000000004020: 7FAA032C
	v_max3_f32 v213, v44, v45, v213                            // 000000004024: D1D300D5 07565B2C
	v_max3_f32 v213, v46, v47, v213                            // 00000000402C: D1D300D5 07565F2E
	v_max3_f32 v213, v48, v49, v213                            // 000000004034: D1D300D5 07566330
	v_max3_f32 v213, v50, v51, v213                            // 00000000403C: D1D300D5 07566732
	v_max3_f32 v213, v52, v53, v213                            // 000000004044: D1D300D5 07566B34
	v_max3_f32 v213, v54, v55, v213                            // 00000000404C: D1D300D5 07566F36
	v_max3_f32 v213, v56, v57, v213                            // 000000004054: D1D300D5 07567338
	v_max3_f32 v213, v58, v59, v213                            // 00000000405C: D1D300D5 0756773A
	v_mov_b32_e32 v35, v213                                    // 000000004064: 7E4603D5
	v_mov_b32_e32 v36, v213                                    // 000000004068: 7E4803D5
	s_nop 0                                                    // 00000000406C: BF800000
	v_mfma_f32_32x32x64_f8f6f4 v[92:107], a[80:87], v[60:67], v[92:107]// 000000004070: D3AE005C 0D727950
	v_permlane32_swap_b32_e32 v35, v36                         // 000000004078: 7E46B524
	v_max3_f32 v213, v35, v36, v213                            // 00000000407C: D1D300D5 07564923
	ds_write_b32 v41, v213                                     // 000000004084: D81A0000 0000D529
	s_mov_b32 s56, 0x14000                                     // 00000000408C: BEB800FF 00014000
	s_mul_i32 s57, s7, 0x2400                                  // 000000004094: 9239FF07 00002400
	s_add_u32 m0, s56, s57                                     // 00000000409C: 807C3938
	buffer_load_dwordx4 v217, s[20:23], 0 offen lds            // 0000000040A0: E05D1000 800500D9
	s_add_i32 m0, m0, 0x3c0                                    // 0000000040A8: 817CFF7C 000003C0
	buffer_load_dwordx4 v217, s[20:23], 0 offen offset:64 lds  // 0000000040B0: E05D1040 800500D9
	s_add_i32 m0, m0, 0x3c0                                    // 0000000040B8: 817CFF7C 000003C0
	s_waitcnt lgkmcnt(0)                                       // 0000000040C0: BF8CC07F
	s_barrier                                                  // 0000000040C4: BF8A0000
	v_mfma_f32_32x32x64_f8f6f4 v[108:123], a[88:95], v[60:67], v[108:123]// 0000000040C8: D3AE006C 0DB27958
	ds_read_b32 v35, v40                                       // 0000000040D0: D86C0000 23000028
	ds_read_b32 v36, v40 offset:256                            // 0000000040D8: D86C0100 24000028
	s_waitcnt lgkmcnt(0)                                       // 0000000040E0: BF8CC07F
	v_max3_f32 v213, v35, v36, v213                            // 0000000040E4: D1D300D5 07564923
	v_mov_b32_e32 v35, 0xff800000                              // 0000000040EC: 7E4602FF FF800000
	v_cmp_eq_u32_e64 s[36:37], v35, v2                         // 0000000040F4: D0CA0024 00020523
	v_max_f32_e32 v216, v213, v2                               // 0000000040FC: 17B005D5
	v_sub_f32_e32 v21, v2, v216                                // 000000004100: 042BB102
	v_cndmask_b32_e64 v21, v21, 0, s[36:37]                    // 000000004104: D1000015 00910115
	v_mfma_f32_32x32x64_f8f6f4 v[124:139], a[96:103], v[60:67], v[124:139]// 00000000410C: D3AE007C 0DF27960
	buffer_load_dwordx4 v217, s[20:23], 0 offen offset:128 lds // 000000004114: E05D1080 800500D9
	s_add_i32 m0, m0, 0x3c0                                    // 00000000411C: 817CFF7C 000003C0
	v_mov_b32_e32 v2, v216                                     // 000000004124: 7E0403D8
	v_mul_f32_e32 v212, s5, v216                               // 000000004128: 0BA9B005
	v_mul_f32_e32 v21, s5, v21                                 // 00000000412C: 0A2A2A05
	v_exp_f32_e32 v21, v21                                     // 000000004130: 7E2A4115
	v_fma_f32 v44, v44, s5, -v212                              // 000000004134: D1CB002C 87500B2C
	v_fma_f32 v45, v45, s5, -v212                              // 00000000413C: D1CB002D 87500B2D
	v_fma_f32 v46, v46, s5, -v212                              // 000000004144: D1CB002E 87500B2E
	v_fma_f32 v47, v47, s5, -v212                              // 00000000414C: D1CB002F 87500B2F
	v_fma_f32 v48, v48, s5, -v212                              // 000000004154: D1CB0030 87500B30
	v_fma_f32 v49, v49, s5, -v212                              // 00000000415C: D1CB0031 87500B31
	v_fma_f32 v50, v50, s5, -v212                              // 000000004164: D1CB0032 87500B32
	v_fma_f32 v51, v51, s5, -v212                              // 00000000416C: D1CB0033 87500B33
	v_fma_f32 v52, v52, s5, -v212                              // 000000004174: D1CB0034 87500B34
	v_mfma_f32_32x32x64_f8f6f4 v[140:155], a[104:111], v[60:67], v[140:155]// 00000000417C: D3AE008C 0E327968
	ds_read_b128 a[80:83], v22 offset:1024                     // 000000004184: DBFE0400 50000016
	ds_read_b128 a[84:87], v23 offset:1024                     // 00000000418C: DBFE0400 54000017
	ds_read_b128 a[88:91], v22 offset:2048                     // 000000004194: DBFE0800 58000016
	ds_read_b128 a[92:95], v23 offset:2048                     // 00000000419C: DBFE0800 5C000017
	ds_read_b128 a[96:99], v22 offset:3072                     // 0000000041A4: DBFE0C00 60000016
	ds_read_b128 a[100:103], v23 offset:3072                   // 0000000041AC: DBFE0C00 64000017
	v_fma_f32 v53, v53, s5, -v212                              // 0000000041B4: D1CB0035 87500B35
	v_fma_f32 v54, v54, s5, -v212                              // 0000000041BC: D1CB0036 87500B36
	v_fma_f32 v55, v55, s5, -v212                              // 0000000041C4: D1CB0037 87500B37
	v_fma_f32 v56, v56, s5, -v212                              // 0000000041CC: D1CB0038 87500B38
	v_fma_f32 v57, v57, s5, -v212                              // 0000000041D4: D1CB0039 87500B39
	v_fma_f32 v58, v58, s5, -v212                              // 0000000041DC: D1CB003A 87500B3A
	v_fma_f32 v59, v59, s5, -v212                              // 0000000041E4: D1CB003B 87500B3B
	v_exp_f32_e32 v44, v44                                     // 0000000041EC: 7E58412C
	v_exp_f32_e32 v45, v45                                     // 0000000041F0: 7E5A412D
	v_mfma_f32_32x32x64_f8f6f4 v[156:171], a[112:119], v[60:67], v[156:171]// 0000000041F4: D3AE009C 0E727970
	buffer_load_dwordx4 v217, s[20:23], 0 offen offset:192 lds // 0000000041FC: E05D10C0 800500D9
	s_add_i32 m0, m0, 0x3c0                                    // 000000004204: 817CFF7C 000003C0
	v_exp_f32_e32 v46, v46                                     // 00000000420C: 7E5C412E
	v_exp_f32_e32 v47, v47                                     // 000000004210: 7E5E412F
	v_exp_f32_e32 v48, v48                                     // 000000004214: 7E604130
	v_exp_f32_e32 v49, v49                                     // 000000004218: 7E624131
	v_exp_f32_e32 v50, v50                                     // 00000000421C: 7E644132
	v_exp_f32_e32 v51, v51                                     // 000000004220: 7E664133
	v_exp_f32_e32 v52, v52                                     // 000000004224: 7E684134
	v_mfma_f32_32x32x64_f8f6f4 v[172:187], a[120:127], v[60:67], v[172:187]// 000000004228: D3AE00AC 0EB27978
	ds_read_b128 a[104:107], v22 offset:4096                   // 000000004230: DBFE1000 68000016
	ds_read_b128 a[108:111], v23 offset:4096                   // 000000004238: DBFE1000 6C000017
	ds_read_b128 a[112:115], v22 offset:5120                   // 000000004240: DBFE1400 70000016
	ds_read_b128 a[116:119], v23 offset:5120                   // 000000004248: DBFE1400 74000017
	ds_read_b128 a[120:123], v22 offset:6144                   // 000000004250: DBFE1800 78000016
	ds_read_b128 a[124:127], v23 offset:6144                   // 000000004258: DBFE1800 7C000017
	v_exp_f32_e32 v53, v53                                     // 000000004260: 7E6A4135
	v_exp_f32_e32 v54, v54                                     // 000000004264: 7E6C4136
	v_exp_f32_e32 v55, v55                                     // 000000004268: 7E6E4137
	v_exp_f32_e32 v56, v56                                     // 00000000426C: 7E704138
	v_exp_f32_e32 v57, v57                                     // 000000004270: 7E724139
	v_mfma_f32_32x32x64_f8f6f4 v[188:203], a[128:135], v[60:67], v[188:203]// 000000004274: D3AE00BC 0EF27980
	ds_read_b128 a[128:131], v22 offset:7168                   // 00000000427C: DBFE1C00 80000016
	ds_read_b128 a[132:135], v23 offset:7168                   // 000000004284: DBFE1C00 84000017
	ds_read_b128 a[136:139], v22 offset:8192                   // 00000000428C: DBFE2000 88000016
	ds_read_b128 a[140:143], v23 offset:8192                   // 000000004294: DBFE2000 8C000017
	v_exp_f32_e32 v58, v58                                     // 00000000429C: 7E74413A
	v_exp_f32_e32 v59, v59                                     // 0000000042A0: 7E76413B
	v_mul_f32_e32 v4, v21, v4                                  // 0000000042A4: 0A080915
	v_mov_b32_e32 v35, v44                                     // 0000000042A8: 7E46032C
	v_add_f32_e32 v35, v45, v35                                // 0000000042AC: 0246472D
	v_add_f32_e32 v35, v46, v35                                // 0000000042B0: 0246472E
	v_add_f32_e32 v35, v47, v35                                // 0000000042B4: 0246472F
	v_add_f32_e32 v35, v48, v35                                // 0000000042B8: 02464730
	v_add_f32_e32 v35, v49, v35                                // 0000000042BC: 02464731
	v_add_f32_e32 v35, v50, v35                                // 0000000042C0: 02464732
	v_add_f32_e32 v35, v51, v35                                // 0000000042C4: 02464733
	v_add_f32_e32 v35, v52, v35                                // 0000000042C8: 02464734
	v_add_f32_e32 v35, v53, v35                                // 0000000042CC: 02464735
	v_add_f32_e32 v35, v54, v35                                // 0000000042D0: 02464736
	v_add_f32_e32 v35, v55, v35                                // 0000000042D4: 02464737
	v_add_f32_e32 v35, v56, v35                                // 0000000042D8: 02464738
	v_add_f32_e32 v35, v57, v35                                // 0000000042DC: 02464739
	v_add_f32_e32 v35, v58, v35                                // 0000000042E0: 0246473A
	v_add_f32_e32 v35, v59, v35                                // 0000000042E4: 0246473B
	v_add_f32_e32 v4, v35, v4                                  // 0000000042E8: 02080923
	v_cvt_pk_fp8_f32 v44, v44, v45                             // 0000000042EC: D2A2002C 00025B2C
	v_cvt_pk_fp8_f32 v44, v46, v47 op_sel:[0,0,1]              // 0000000042F4: D2A2402C 00025F2E
	v_cvt_pk_fp8_f32 v45, v48, v49                             // 0000000042FC: D2A2002D 00026330
	v_cvt_pk_fp8_f32 v45, v50, v51 op_sel:[0,0,1]              // 000000004304: D2A2402D 00026732
	v_cvt_pk_fp8_f32 v46, v52, v53                             // 00000000430C: D2A2002E 00026B34
	v_cvt_pk_fp8_f32 v46, v54, v55 op_sel:[0,0,1]              // 000000004314: D2A2402E 00026F36
	v_cvt_pk_fp8_f32 v47, v56, v57                             // 00000000431C: D2A2002F 00027338
	v_cvt_pk_fp8_f32 v47, v58, v59 op_sel:[0,0,1]              // 000000004324: D2A2402F 0002773A
	s_waitcnt lgkmcnt(8)                                       // 00000000432C: BF8CC87F
	v_mfma_f32_32x32x64_f8f6f4 v[60:75], a[72:79], a[0:7], 0   // 000000004330: D3AE003C 1A020148
	ds_write_b128 v43, v[44:47] offset:1024                    // 000000004338: D9BE0400 00002C2B
	buffer_load_dword v33, v34, s[24:27], 0 offen              // 000000004340: E0501000 80062122
	buffer_load_dwordx4 v217, s[20:23], 0 offen offset:256 lds // 000000004348: E05D1100 800500D9
	s_add_i32 m0, m0, 0x3c0                                    // 000000004350: 817CFF7C 000003C0
	v_mul_f32_e32 v76, v21, v76                                // 000000004358: 0A989915
	v_mul_f32_e32 v77, v21, v77                                // 00000000435C: 0A9A9B15
	v_mul_f32_e32 v78, v21, v78                                // 000000004360: 0A9C9D15
	v_mul_f32_e32 v79, v21, v79                                // 000000004364: 0A9E9F15
	v_mul_f32_e32 v80, v21, v80                                // 000000004368: 0AA0A115
	v_mul_f32_e32 v81, v21, v81                                // 00000000436C: 0AA2A315
	v_mul_f32_e32 v82, v21, v82                                // 000000004370: 0AA4A515
	v_mul_f32_e32 v83, v21, v83                                // 000000004374: 0AA6A715
	v_mul_f32_e32 v84, v21, v84                                // 000000004378: 0AA8A915
	v_mfma_f32_32x32x64_f8f6f4 v[60:75], a[80:87], a[8:15], v[60:75]// 00000000437C: D3AE003C 1CF21150
	ds_read_b64_tr_b8 a[72:73], v17                            // 000000004384: DBC40000 48000011
	ds_read_b64_tr_b8 a[74:75], v18                            // 00000000438C: DBC40000 4A000012
	ds_read_b64_tr_b8 a[76:77], v17 offset:18432               // 000000004394: DBC44800 4C000011
	ds_read_b64_tr_b8 a[78:79], v18 offset:18432               // 00000000439C: DBC44800 4E000012
	ds_read_b64_tr_b8 a[80:81], v19                            // 0000000043A4: DBC40000 50000013
	ds_read_b64_tr_b8 a[82:83], v20                            // 0000000043AC: DBC40000 52000014
	ds_read_b64_tr_b8 a[84:85], v19 offset:18432               // 0000000043B4: DBC44800 54000013
	ds_read_b64_tr_b8 a[86:87], v20 offset:18432               // 0000000043BC: DBC44800 56000014
	v_mul_f32_e32 v85, v21, v85                                // 0000000043C4: 0AAAAB15
	v_mul_f32_e32 v86, v21, v86                                // 0000000043C8: 0AACAD15
	v_mul_f32_e32 v87, v21, v87                                // 0000000043CC: 0AAEAF15
	v_mul_f32_e32 v88, v21, v88                                // 0000000043D0: 0AB0B115
	v_mul_f32_e32 v89, v21, v89                                // 0000000043D4: 0AB2B315
	v_mul_f32_e32 v90, v21, v90                                // 0000000043D8: 0AB4B515
	v_mul_f32_e32 v91, v21, v91                                // 0000000043DC: 0AB6B715
	v_mul_f32_e32 v92, v21, v92                                // 0000000043E0: 0AB8B915
	v_mul_f32_e32 v93, v21, v93                                // 0000000043E4: 0ABABB15
	v_mul_f32_e32 v94, v21, v94                                // 0000000043E8: 0ABCBD15
	v_mul_f32_e32 v95, v21, v95                                // 0000000043EC: 0ABEBF15
	v_mul_f32_e32 v96, v21, v96                                // 0000000043F0: 0AC0C115
	s_waitcnt lgkmcnt(0)                                       // 0000000043F4: BF8CC07F
	s_barrier                                                  // 0000000043F8: BF8A0000
	v_mfma_f32_32x32x64_f8f6f4 v[60:75], a[88:95], a[16:23], v[60:75]// 0000000043FC: D3AE003C 1CF22158
	ds_read_b128 v[44:47], v42 offset:1024                     // 000000004404: D9FE0400 2C00002A
	ds_read_b128 v[48:51], v42 offset:2048                     // 00000000440C: D9FE0800 3000002A
	buffer_load_dwordx4 v217, s[20:23], 0 offen offset:320 lds // 000000004414: E05D1140 800500D9
	s_add_i32 m0, m0, 0x3c0                                    // 00000000441C: 817CFF7C 000003C0
	v_mul_f32_e32 v97, v21, v97                                // 000000004424: 0AC2C315
	v_mul_f32_e32 v98, v21, v98                                // 000000004428: 0AC4C515
	v_mul_f32_e32 v99, v21, v99                                // 00000000442C: 0AC6C715
	v_mul_f32_e32 v100, v21, v100                              // 000000004430: 0AC8C915
	v_mul_f32_e32 v101, v21, v101                              // 000000004434: 0ACACB15
	v_mul_f32_e32 v102, v21, v102                              // 000000004438: 0ACCCD15
	v_mul_f32_e32 v103, v21, v103                              // 00000000443C: 0ACECF15
	v_mul_f32_e32 v104, v21, v104                              // 000000004440: 0AD0D115
	v_mul_f32_e32 v105, v21, v105                              // 000000004444: 0AD2D315
	v_mul_f32_e32 v106, v21, v106                              // 000000004448: 0AD4D515
	v_mul_f32_e32 v107, v21, v107                              // 00000000444C: 0AD6D715
	v_mul_f32_e32 v108, v21, v108                              // 000000004450: 0AD8D915
	v_add_u32_e32 v34, s73, v34                                // 000000004454: 68444449
	v_mfma_f32_32x32x64_f8f6f4 v[60:75], a[96:103], a[24:31], v[60:75]// 000000004458: D3AE003C 1CF23160
	ds_read_b64_tr_b8 a[88:89], v17 offset:1024                // 000000004460: DBC40400 58000011
	ds_read_b64_tr_b8 a[90:91], v18 offset:1024                // 000000004468: DBC40400 5A000012
	ds_read_b64_tr_b8 a[92:93], v17 offset:19456               // 000000004470: DBC44C00 5C000011
	ds_read_b64_tr_b8 a[94:95], v18 offset:19456               // 000000004478: DBC44C00 5E000012
	ds_read_b64_tr_b8 a[96:97], v19 offset:1024                // 000000004480: DBC40400 60000013
	ds_read_b64_tr_b8 a[98:99], v20 offset:1024                // 000000004488: DBC40400 62000014
	ds_read_b64_tr_b8 a[100:101], v19 offset:19456             // 000000004490: DBC44C00 64000013
	ds_read_b64_tr_b8 a[102:103], v20 offset:19456             // 000000004498: DBC44C00 66000014
	v_mul_f32_e32 v109, v21, v109                              // 0000000044A0: 0ADADB15
	v_mul_f32_e32 v110, v21, v110                              // 0000000044A4: 0ADCDD15
	v_mul_f32_e32 v111, v21, v111                              // 0000000044A8: 0ADEDF15
	v_mul_f32_e32 v112, v21, v112                              // 0000000044AC: 0AE0E115
	v_mul_f32_e32 v113, v21, v113                              // 0000000044B0: 0AE2E315
	v_mul_f32_e32 v114, v21, v114                              // 0000000044B4: 0AE4E515
	v_mul_f32_e32 v115, v21, v115                              // 0000000044B8: 0AE6E715
	v_mul_f32_e32 v116, v21, v116                              // 0000000044BC: 0AE8E915
	v_mul_f32_e32 v117, v21, v117                              // 0000000044C0: 0AEAEB15
	v_mul_f32_e32 v118, v21, v118                              // 0000000044C4: 0AECED15
	v_mul_f32_e32 v119, v21, v119                              // 0000000044C8: 0AEEEF15
	v_mul_f32_e32 v120, v21, v120                              // 0000000044CC: 0AF0F115
	v_mfma_f32_32x32x64_f8f6f4 v[60:75], a[104:111], a[32:39], v[60:75]// 0000000044D0: D3AE003C 1CF24168
	buffer_load_dwordx4 v217, s[20:23], 0 offen offset:384 lds // 0000000044D8: E05D1180 800500D9
	s_add_i32 m0, m0, 0x3c0                                    // 0000000044E0: 817CFF7C 000003C0
	v_mul_f32_e32 v121, v21, v121                              // 0000000044E8: 0AF2F315
	v_mul_f32_e32 v122, v21, v122                              // 0000000044EC: 0AF4F515
	v_mul_f32_e32 v123, v21, v123                              // 0000000044F0: 0AF6F715
	v_mul_f32_e32 v124, v21, v124                              // 0000000044F4: 0AF8F915
	v_mul_f32_e32 v125, v21, v125                              // 0000000044F8: 0AFAFB15
	v_mul_f32_e32 v126, v21, v126                              // 0000000044FC: 0AFCFD15
	v_mul_f32_e32 v127, v21, v127                              // 000000004500: 0AFEFF15
	v_mul_f32_e32 v128, v21, v128                              // 000000004504: 0B010115
	v_mul_f32_e32 v129, v21, v129                              // 000000004508: 0B030315
	v_mul_f32_e32 v130, v21, v130                              // 00000000450C: 0B050515
	v_mul_f32_e32 v131, v21, v131                              // 000000004510: 0B070715
	v_mul_f32_e32 v132, v21, v132                              // 000000004514: 0B090915
	v_mfma_f32_32x32x64_f8f6f4 v[60:75], a[112:119], a[40:47], v[60:75]// 000000004518: D3AE003C 1CF25170
	s_waitcnt lgkmcnt(0)                                       // 000000004520: BF8CC07F
	ds_read_b64_tr_b8 a[104:105], v17 offset:2048              // 000000004524: DBC40800 68000011
	ds_read_b64_tr_b8 a[106:107], v18 offset:2048              // 00000000452C: DBC40800 6A000012
	ds_read_b64_tr_b8 a[108:109], v17 offset:20480             // 000000004534: DBC45000 6C000011
	ds_read_b64_tr_b8 a[110:111], v18 offset:20480             // 00000000453C: DBC45000 6E000012
	ds_read_b64_tr_b8 a[112:113], v19 offset:2048              // 000000004544: DBC40800 70000013
	ds_read_b64_tr_b8 a[114:115], v20 offset:2048              // 00000000454C: DBC40800 72000014
	ds_read_b64_tr_b8 a[116:117], v19 offset:20480             // 000000004554: DBC45000 74000013
	ds_read_b64_tr_b8 a[118:119], v20 offset:20480             // 00000000455C: DBC45000 76000014
	v_mul_f32_e32 v133, v21, v133                              // 000000004564: 0B0B0B15
	v_mul_f32_e32 v134, v21, v134                              // 000000004568: 0B0D0D15
	v_mul_f32_e32 v135, v21, v135                              // 00000000456C: 0B0F0F15
	v_mul_f32_e32 v136, v21, v136                              // 000000004570: 0B111115
	v_mul_f32_e32 v137, v21, v137                              // 000000004574: 0B131315
	v_mul_f32_e32 v138, v21, v138                              // 000000004578: 0B151515
	v_mul_f32_e32 v139, v21, v139                              // 00000000457C: 0B171715
	v_mfma_f32_32x32x64_f8f6f4 v[60:75], a[120:127], a[48:55], v[60:75]// 000000004580: D3AE003C 1CF26178
	buffer_load_dwordx4 v217, s[20:23], 0 offen offset:448 lds // 000000004588: E05D11C0 800500D9
	s_add_i32 m0, m0, 0x3c0                                    // 000000004590: 817CFF7C 000003C0
	v_permlane32_swap_b32_e32 v44, v46                         // 000000004598: 7E58B52E
	v_permlane32_swap_b32_e32 v45, v47                         // 00000000459C: 7E5AB52F
	v_swap_b32 v45, v46                                        // 0000000045A0: 7E5AA32E
	v_permlane32_swap_b32_e32 v48, v50                         // 0000000045A4: 7E60B532
	v_permlane32_swap_b32_e32 v49, v51                         // 0000000045A8: 7E62B533
	v_swap_b32 v49, v50                                        // 0000000045AC: 7E62A332
	v_mfma_f32_32x32x64_f8f6f4 v[60:75], a[128:135], a[56:63], v[60:75]// 0000000045B0: D3AE003C 1CF27180
	ds_read_b64_tr_b8 a[120:121], v17 offset:3072              // 0000000045B8: DBC40C00 78000011
	ds_read_b64_tr_b8 a[122:123], v18 offset:3072              // 0000000045C0: DBC40C00 7A000012
	ds_read_b64_tr_b8 a[124:125], v17 offset:21504             // 0000000045C8: DBC45400 7C000011
	ds_read_b64_tr_b8 a[126:127], v18 offset:21504             // 0000000045D0: DBC45400 7E000012
	ds_read_b64_tr_b8 a[128:129], v19 offset:3072              // 0000000045D8: DBC40C00 80000013
	ds_read_b64_tr_b8 a[130:131], v20 offset:3072              // 0000000045E0: DBC40C00 82000014
	ds_read_b64_tr_b8 a[132:133], v19 offset:21504             // 0000000045E8: DBC45400 84000013
	ds_read_b64_tr_b8 a[134:135], v20 offset:21504             // 0000000045F0: DBC45400 86000014
	v_mov_b32_e32 v36, v21                                     // 0000000045F8: 7E480315
	v_mov_b32_e32 v37, v21                                     // 0000000045FC: 7E4A0315
	v_pk_mul_f32 v[140:141], v[36:37], v[140:141]              // 000000004600: D3B1408C 18031924
	v_pk_mul_f32 v[142:143], v[36:37], v[142:143]              // 000000004608: D3B1408E 18031D24
	v_pk_mul_f32 v[144:145], v[36:37], v[144:145]              // 000000004610: D3B14090 18032124
	v_pk_mul_f32 v[146:147], v[36:37], v[146:147]              // 000000004618: D3B14092 18032524
	v_pk_mul_f32 v[148:149], v[36:37], v[148:149]              // 000000004620: D3B14094 18032924
	v_pk_mul_f32 v[150:151], v[36:37], v[150:151]              // 000000004628: D3B14096 18032D24
	v_pk_mul_f32 v[152:153], v[36:37], v[152:153]              // 000000004630: D3B14098 18033124
	v_pk_mul_f32 v[154:155], v[36:37], v[154:155]              // 000000004638: D3B1409A 18033524
	v_pk_mul_f32 v[156:157], v[36:37], v[156:157]              // 000000004640: D3B1409C 18033924
	v_pk_mul_f32 v[158:159], v[36:37], v[158:159]              // 000000004648: D3B1409E 18033D24
	v_pk_mul_f32 v[160:161], v[36:37], v[160:161]              // 000000004650: D3B140A0 18034124
	v_pk_mul_f32 v[162:163], v[36:37], v[162:163]              // 000000004658: D3B140A2 18034524
	v_pk_mul_f32 v[164:165], v[36:37], v[164:165]              // 000000004660: D3B140A4 18034924
	v_pk_mul_f32 v[166:167], v[36:37], v[166:167]              // 000000004668: D3B140A6 18034D24
	v_pk_mul_f32 v[168:169], v[36:37], v[168:169]              // 000000004670: D3B140A8 18035124
	v_pk_mul_f32 v[170:171], v[36:37], v[170:171]              // 000000004678: D3B140AA 18035524
	v_pk_mul_f32 v[172:173], v[36:37], v[172:173]              // 000000004680: D3B140AC 18035924
	v_pk_mul_f32 v[174:175], v[36:37], v[174:175]              // 000000004688: D3B140AE 18035D24
	v_pk_mul_f32 v[176:177], v[36:37], v[176:177]              // 000000004690: D3B140B0 18036124
	v_pk_mul_f32 v[178:179], v[36:37], v[178:179]              // 000000004698: D3B140B2 18036524
	v_pk_mul_f32 v[180:181], v[36:37], v[180:181]              // 0000000046A0: D3B140B4 18036924
	v_pk_mul_f32 v[182:183], v[36:37], v[182:183]              // 0000000046A8: D3B140B6 18036D24
	v_pk_mul_f32 v[184:185], v[36:37], v[184:185]              // 0000000046B0: D3B140B8 18037124
	v_pk_mul_f32 v[186:187], v[36:37], v[186:187]              // 0000000046B8: D3B140BA 18037524
	v_pk_mul_f32 v[188:189], v[36:37], v[188:189]              // 0000000046C0: D3B140BC 18037924
	v_pk_mul_f32 v[190:191], v[36:37], v[190:191]              // 0000000046C8: D3B140BE 18037D24
	v_pk_mul_f32 v[192:193], v[36:37], v[192:193]              // 0000000046D0: D3B140C0 18038124
	v_pk_mul_f32 v[194:195], v[36:37], v[194:195]              // 0000000046D8: D3B140C2 18038524
	v_pk_mul_f32 v[196:197], v[36:37], v[196:197]              // 0000000046E0: D3B140C4 18038924
	v_pk_mul_f32 v[198:199], v[36:37], v[198:199]              // 0000000046E8: D3B140C6 18038D24
	v_pk_mul_f32 v[200:201], v[36:37], v[200:201]              // 0000000046F0: D3B140C8 18039124
	v_pk_mul_f32 v[202:203], v[36:37], v[202:203]              // 0000000046F8: D3B140CA 18039524
	v_mfma_f32_32x32x64_f8f6f4 v[60:75], a[136:143], a[64:71], v[60:75]// 000000004700: D3AE003C 1CF28188
	buffer_load_dwordx4 v217, s[20:23], 0 offen offset:512 lds // 000000004708: E05D1200 800500D9
	s_add_i32 m0, m0, 0x3c0                                    // 000000004710: 817CFF7C 000003C0
	s_addk_i32 s70, 0x1                                        // 000000004718: B7460001
	s_cmp_lt_i32 s70, s71                                      // 00000000471C: BF044746
	s_cbranch_scc0 label_3190                                  // 000000004720: BF84039B
	v_mul_u32_u24_e64 v217, v32, s68                           // 000000004724: D10800D9 00008920
	v_add_u32_e32 v217, v217, v1                               // 00000000472C: 69B203D9
	s_waitcnt vmcnt(10)                                        // 000000004730: BF8C0F7A
	s_barrier                                                  // 000000004734: BF8A0000
	s_waitcnt lgkmcnt(8)                                       // 000000004738: BF8CC87F
	v_mfma_f32_32x32x64_f8f6f4 v[76:91], a[72:79], v[44:51], v[76:91]// 00000000473C: D3AE004C 0D325948
	ds_read_b128 a[72:75], v24                                 // 000000004744: DBFE0000 48000018
	ds_read_b128 a[76:79], v25                                 // 00000000474C: DBFE0000 4C000019
	v_mov_b32_e32 v213, v60                                    // 000000004754: 7FAA033C
	v_max3_f32 v213, v60, v61, v213                            // 000000004758: D1D300D5 07567B3C
	v_max3_f32 v213, v62, v63, v213                            // 000000004760: D1D300D5 07567F3E
	v_max3_f32 v213, v64, v65, v213                            // 000000004768: D1D300D5 07568340
	v_max3_f32 v213, v66, v67, v213                            // 000000004770: D1D300D5 07568742
	v_max3_f32 v213, v68, v69, v213                            // 000000004778: D1D300D5 07568B44
	v_max3_f32 v213, v70, v71, v213                            // 000000004780: D1D300D5 07568F46
	v_max3_f32 v213, v72, v73, v213                            // 000000004788: D1D300D5 07569348
	v_max3_f32 v213, v74, v75, v213                            // 000000004790: D1D300D5 0756974A
	v_mov_b32_e32 v35, v213                                    // 000000004798: 7E4603D5
	v_mov_b32_e32 v36, v213                                    // 00000000479C: 7E4803D5
	s_nop 0                                                    // 0000000047A0: BF800000
	v_mfma_f32_32x32x64_f8f6f4 v[92:107], a[80:87], v[44:51], v[92:107]// 0000000047A4: D3AE005C 0D725950
	v_permlane32_swap_b32_e32 v35, v36                         // 0000000047AC: 7E46B524
	v_max3_f32 v213, v35, v36, v213                            // 0000000047B0: D1D300D5 07564923
	ds_write_b32 v41, v213                                     // 0000000047B8: D81A0000 0000D529
	s_mov_b32 s56, 0x1d000                                     // 0000000047C0: BEB800FF 0001D000
	s_mul_i32 s57, s7, 0x2400                                  // 0000000047C8: 9239FF07 00002400
	s_add_u32 m0, s56, s57                                     // 0000000047D0: 807C3938
	buffer_load_dwordx4 v217, s[20:23], 0 offen lds            // 0000000047D4: E05D1000 800500D9
	s_add_i32 m0, m0, 0x3c0                                    // 0000000047DC: 817CFF7C 000003C0
	buffer_load_dwordx4 v217, s[20:23], 0 offen offset:64 lds  // 0000000047E4: E05D1040 800500D9
	s_add_i32 m0, m0, 0x3c0                                    // 0000000047EC: 817CFF7C 000003C0
	s_waitcnt lgkmcnt(0)                                       // 0000000047F4: BF8CC07F
	s_barrier                                                  // 0000000047F8: BF8A0000
	v_mfma_f32_32x32x64_f8f6f4 v[108:123], a[88:95], v[44:51], v[108:123]// 0000000047FC: D3AE006C 0DB25958
	ds_read_b32 v35, v40                                       // 000000004804: D86C0000 23000028
	ds_read_b32 v36, v40 offset:256                            // 00000000480C: D86C0100 24000028
	s_waitcnt lgkmcnt(0)                                       // 000000004814: BF8CC07F
	v_max3_f32 v213, v35, v36, v213                            // 000000004818: D1D300D5 07564923
	v_mov_b32_e32 v35, 0xff800000                              // 000000004820: 7E4602FF FF800000
	v_cmp_eq_u32_e64 s[36:37], v35, v2                         // 000000004828: D0CA0024 00020523
	v_max_f32_e32 v216, v213, v2                               // 000000004830: 17B005D5
	v_sub_f32_e32 v21, v2, v216                                // 000000004834: 042BB102
	v_cndmask_b32_e64 v21, v21, 0, s[36:37]                    // 000000004838: D1000015 00910115
	v_mfma_f32_32x32x64_f8f6f4 v[124:139], a[96:103], v[44:51], v[124:139]// 000000004840: D3AE007C 0DF25960
	buffer_load_dwordx4 v217, s[20:23], 0 offen offset:128 lds // 000000004848: E05D1080 800500D9
	s_add_i32 m0, m0, 0x3c0                                    // 000000004850: 817CFF7C 000003C0
	v_mov_b32_e32 v2, v216                                     // 000000004858: 7E0403D8
	v_mul_f32_e32 v212, s5, v216                               // 00000000485C: 0BA9B005
	v_mul_f32_e32 v21, s5, v21                                 // 000000004860: 0A2A2A05
	v_exp_f32_e32 v21, v21                                     // 000000004864: 7E2A4115
	v_fma_f32 v60, v60, s5, -v212                              // 000000004868: D1CB003C 87500B3C
	v_fma_f32 v61, v61, s5, -v212                              // 000000004870: D1CB003D 87500B3D
	v_fma_f32 v62, v62, s5, -v212                              // 000000004878: D1CB003E 87500B3E
	v_fma_f32 v63, v63, s5, -v212                              // 000000004880: D1CB003F 87500B3F
	v_fma_f32 v64, v64, s5, -v212                              // 000000004888: D1CB0040 87500B40
	v_fma_f32 v65, v65, s5, -v212                              // 000000004890: D1CB0041 87500B41
	v_fma_f32 v66, v66, s5, -v212                              // 000000004898: D1CB0042 87500B42
	v_fma_f32 v67, v67, s5, -v212                              // 0000000048A0: D1CB0043 87500B43
	v_fma_f32 v68, v68, s5, -v212                              // 0000000048A8: D1CB0044 87500B44
	v_mfma_f32_32x32x64_f8f6f4 v[140:155], a[104:111], v[44:51], v[140:155]// 0000000048B0: D3AE008C 0E325968
	ds_read_b128 a[80:83], v24 offset:1024                     // 0000000048B8: DBFE0400 50000018
	ds_read_b128 a[84:87], v25 offset:1024                     // 0000000048C0: DBFE0400 54000019
	ds_read_b128 a[88:91], v24 offset:2048                     // 0000000048C8: DBFE0800 58000018
	ds_read_b128 a[92:95], v25 offset:2048                     // 0000000048D0: DBFE0800 5C000019
	ds_read_b128 a[96:99], v24 offset:3072                     // 0000000048D8: DBFE0C00 60000018
	ds_read_b128 a[100:103], v25 offset:3072                   // 0000000048E0: DBFE0C00 64000019
	v_fma_f32 v69, v69, s5, -v212                              // 0000000048E8: D1CB0045 87500B45
	v_fma_f32 v70, v70, s5, -v212                              // 0000000048F0: D1CB0046 87500B46
	v_fma_f32 v71, v71, s5, -v212                              // 0000000048F8: D1CB0047 87500B47
	v_fma_f32 v72, v72, s5, -v212                              // 000000004900: D1CB0048 87500B48
	v_fma_f32 v73, v73, s5, -v212                              // 000000004908: D1CB0049 87500B49
	v_fma_f32 v74, v74, s5, -v212                              // 000000004910: D1CB004A 87500B4A
	v_fma_f32 v75, v75, s5, -v212                              // 000000004918: D1CB004B 87500B4B
	v_exp_f32_e32 v60, v60                                     // 000000004920: 7E78413C
	v_exp_f32_e32 v61, v61                                     // 000000004924: 7E7A413D
	v_mfma_f32_32x32x64_f8f6f4 v[156:171], a[112:119], v[44:51], v[156:171]// 000000004928: D3AE009C 0E725970
	buffer_load_dwordx4 v217, s[20:23], 0 offen offset:192 lds // 000000004930: E05D10C0 800500D9
	s_add_i32 m0, m0, 0x3c0                                    // 000000004938: 817CFF7C 000003C0
	v_exp_f32_e32 v62, v62                                     // 000000004940: 7E7C413E
	v_exp_f32_e32 v63, v63                                     // 000000004944: 7E7E413F
	v_exp_f32_e32 v64, v64                                     // 000000004948: 7E804140
	v_exp_f32_e32 v65, v65                                     // 00000000494C: 7E824141
	v_exp_f32_e32 v66, v66                                     // 000000004950: 7E844142
	v_exp_f32_e32 v67, v67                                     // 000000004954: 7E864143
	v_exp_f32_e32 v68, v68                                     // 000000004958: 7E884144
	v_mfma_f32_32x32x64_f8f6f4 v[172:187], a[120:127], v[44:51], v[172:187]// 00000000495C: D3AE00AC 0EB25978
	ds_read_b128 a[104:107], v24 offset:4096                   // 000000004964: DBFE1000 68000018
	ds_read_b128 a[108:111], v25 offset:4096                   // 00000000496C: DBFE1000 6C000019
	ds_read_b128 a[112:115], v24 offset:5120                   // 000000004974: DBFE1400 70000018
	ds_read_b128 a[116:119], v25 offset:5120                   // 00000000497C: DBFE1400 74000019
	ds_read_b128 a[120:123], v24 offset:6144                   // 000000004984: DBFE1800 78000018
	ds_read_b128 a[124:127], v25 offset:6144                   // 00000000498C: DBFE1800 7C000019
	v_exp_f32_e32 v69, v69                                     // 000000004994: 7E8A4145
	v_exp_f32_e32 v70, v70                                     // 000000004998: 7E8C4146
	v_exp_f32_e32 v71, v71                                     // 00000000499C: 7E8E4147
	v_exp_f32_e32 v72, v72                                     // 0000000049A0: 7E904148
	v_exp_f32_e32 v73, v73                                     // 0000000049A4: 7E924149
	v_mfma_f32_32x32x64_f8f6f4 v[188:203], a[128:135], v[44:51], v[188:203]// 0000000049A8: D3AE00BC 0EF25980
	ds_read_b128 a[128:131], v24 offset:7168                   // 0000000049B0: DBFE1C00 80000018
	ds_read_b128 a[132:135], v25 offset:7168                   // 0000000049B8: DBFE1C00 84000019
	ds_read_b128 a[136:139], v24 offset:8192                   // 0000000049C0: DBFE2000 88000018
	ds_read_b128 a[140:143], v25 offset:8192                   // 0000000049C8: DBFE2000 8C000019
	v_exp_f32_e32 v74, v74                                     // 0000000049D0: 7E94414A
	v_exp_f32_e32 v75, v75                                     // 0000000049D4: 7E96414B
	v_mul_f32_e32 v4, v21, v4                                  // 0000000049D8: 0A080915
	v_mov_b32_e32 v35, v60                                     // 0000000049DC: 7E46033C
	v_add_f32_e32 v35, v61, v35                                // 0000000049E0: 0246473D
	v_add_f32_e32 v35, v62, v35                                // 0000000049E4: 0246473E
	v_add_f32_e32 v35, v63, v35                                // 0000000049E8: 0246473F
	v_add_f32_e32 v35, v64, v35                                // 0000000049EC: 02464740
	v_add_f32_e32 v35, v65, v35                                // 0000000049F0: 02464741
	v_add_f32_e32 v35, v66, v35                                // 0000000049F4: 02464742
	v_add_f32_e32 v35, v67, v35                                // 0000000049F8: 02464743
	v_add_f32_e32 v35, v68, v35                                // 0000000049FC: 02464744
	v_add_f32_e32 v35, v69, v35                                // 000000004A00: 02464745
	v_add_f32_e32 v35, v70, v35                                // 000000004A04: 02464746
	v_add_f32_e32 v35, v71, v35                                // 000000004A08: 02464747
	v_add_f32_e32 v35, v72, v35                                // 000000004A0C: 02464748
	v_add_f32_e32 v35, v73, v35                                // 000000004A10: 02464749
	v_add_f32_e32 v35, v74, v35                                // 000000004A14: 0246474A
	v_add_f32_e32 v35, v75, v35                                // 000000004A18: 0246474B
	v_add_f32_e32 v4, v35, v4                                  // 000000004A1C: 02080923
	v_cvt_pk_fp8_f32 v60, v60, v61                             // 000000004A20: D2A2003C 00027B3C
	v_cvt_pk_fp8_f32 v60, v62, v63 op_sel:[0,0,1]              // 000000004A28: D2A2403C 00027F3E
	v_cvt_pk_fp8_f32 v61, v64, v65                             // 000000004A30: D2A2003D 00028340
	v_cvt_pk_fp8_f32 v61, v66, v67 op_sel:[0,0,1]              // 000000004A38: D2A2403D 00028742
	v_cvt_pk_fp8_f32 v62, v68, v69                             // 000000004A40: D2A2003E 00028B44
	v_cvt_pk_fp8_f32 v62, v70, v71 op_sel:[0,0,1]              // 000000004A48: D2A2403E 00028F46
	v_cvt_pk_fp8_f32 v63, v72, v73                             // 000000004A50: D2A2003F 00029348
	v_cvt_pk_fp8_f32 v63, v74, v75 op_sel:[0,0,1]              // 000000004A58: D2A2403F 0002974A
	s_waitcnt lgkmcnt(8)                                       // 000000004A60: BF8CC87F
	v_mfma_f32_32x32x64_f8f6f4 v[44:59], a[72:79], a[0:7], 0   // 000000004A64: D3AE002C 1A020148
	ds_write_b128 v43, v[60:63] offset:1024                    // 000000004A6C: D9BE0400 00003C2B
	buffer_load_dword v30, v34, s[24:27], 0 offen              // 000000004A74: E0501000 80061E22
	buffer_load_dwordx4 v217, s[20:23], 0 offen offset:256 lds // 000000004A7C: E05D1100 800500D9
	s_add_i32 m0, m0, 0x3c0                                    // 000000004A84: 817CFF7C 000003C0
	v_mul_f32_e32 v76, v21, v76                                // 000000004A8C: 0A989915
	v_mul_f32_e32 v77, v21, v77                                // 000000004A90: 0A9A9B15
	v_mul_f32_e32 v78, v21, v78                                // 000000004A94: 0A9C9D15
	v_mul_f32_e32 v79, v21, v79                                // 000000004A98: 0A9E9F15
	v_mul_f32_e32 v80, v21, v80                                // 000000004A9C: 0AA0A115
	v_mul_f32_e32 v81, v21, v81                                // 000000004AA0: 0AA2A315
	v_mul_f32_e32 v82, v21, v82                                // 000000004AA4: 0AA4A515
	v_mul_f32_e32 v83, v21, v83                                // 000000004AA8: 0AA6A715
	v_mul_f32_e32 v84, v21, v84                                // 000000004AAC: 0AA8A915
	v_mfma_f32_32x32x64_f8f6f4 v[44:59], a[80:87], a[8:15], v[44:59]// 000000004AB0: D3AE002C 1CB21150
	ds_read_b64_tr_b8 a[72:73], v5                             // 000000004AB8: DBC40000 48000005
	ds_read_b64_tr_b8 a[74:75], v6                             // 000000004AC0: DBC40000 4A000006
	ds_read_b64_tr_b8 a[76:77], v5 offset:18432                // 000000004AC8: DBC44800 4C000005
	ds_read_b64_tr_b8 a[78:79], v6 offset:18432                // 000000004AD0: DBC44800 4E000006
	ds_read_b64_tr_b8 a[80:81], v7                             // 000000004AD8: DBC40000 50000007
	ds_read_b64_tr_b8 a[82:83], v8                             // 000000004AE0: DBC40000 52000008
	ds_read_b64_tr_b8 a[84:85], v7 offset:18432                // 000000004AE8: DBC44800 54000007
	ds_read_b64_tr_b8 a[86:87], v8 offset:18432                // 000000004AF0: DBC44800 56000008
	v_mul_f32_e32 v85, v21, v85                                // 000000004AF8: 0AAAAB15
	v_mul_f32_e32 v86, v21, v86                                // 000000004AFC: 0AACAD15
	v_mul_f32_e32 v87, v21, v87                                // 000000004B00: 0AAEAF15
	v_mul_f32_e32 v88, v21, v88                                // 000000004B04: 0AB0B115
	v_mul_f32_e32 v89, v21, v89                                // 000000004B08: 0AB2B315
	v_mul_f32_e32 v90, v21, v90                                // 000000004B0C: 0AB4B515
	v_mul_f32_e32 v91, v21, v91                                // 000000004B10: 0AB6B715
	v_mul_f32_e32 v92, v21, v92                                // 000000004B14: 0AB8B915
	v_mul_f32_e32 v93, v21, v93                                // 000000004B18: 0ABABB15
	v_mul_f32_e32 v94, v21, v94                                // 000000004B1C: 0ABCBD15
	v_mul_f32_e32 v95, v21, v95                                // 000000004B20: 0ABEBF15
	v_mul_f32_e32 v96, v21, v96                                // 000000004B24: 0AC0C115
	s_waitcnt lgkmcnt(0)                                       // 000000004B28: BF8CC07F
	s_barrier                                                  // 000000004B2C: BF8A0000
	v_mfma_f32_32x32x64_f8f6f4 v[44:59], a[88:95], a[16:23], v[44:59]// 000000004B30: D3AE002C 1CB22158
	ds_read_b128 v[60:63], v42 offset:1024                     // 000000004B38: D9FE0400 3C00002A
	ds_read_b128 v[64:67], v42 offset:2048                     // 000000004B40: D9FE0800 4000002A
	buffer_load_dwordx4 v217, s[20:23], 0 offen offset:320 lds // 000000004B48: E05D1140 800500D9
	s_add_i32 m0, m0, 0x3c0                                    // 000000004B50: 817CFF7C 000003C0
	v_mul_f32_e32 v97, v21, v97                                // 000000004B58: 0AC2C315
	v_mul_f32_e32 v98, v21, v98                                // 000000004B5C: 0AC4C515
	v_mul_f32_e32 v99, v21, v99                                // 000000004B60: 0AC6C715
	v_mul_f32_e32 v100, v21, v100                              // 000000004B64: 0AC8C915
	v_mul_f32_e32 v101, v21, v101                              // 000000004B68: 0ACACB15
	v_mul_f32_e32 v102, v21, v102                              // 000000004B6C: 0ACCCD15
	v_mul_f32_e32 v103, v21, v103                              // 000000004B70: 0ACECF15
	v_mul_f32_e32 v104, v21, v104                              // 000000004B74: 0AD0D115
	v_mul_f32_e32 v105, v21, v105                              // 000000004B78: 0AD2D315
	v_mul_f32_e32 v106, v21, v106                              // 000000004B7C: 0AD4D515
	v_mul_f32_e32 v107, v21, v107                              // 000000004B80: 0AD6D715
	v_mul_f32_e32 v108, v21, v108                              // 000000004B84: 0AD8D915
	v_add_u32_e32 v34, s73, v34                                // 000000004B88: 68444449
	v_mfma_f32_32x32x64_f8f6f4 v[44:59], a[96:103], a[24:31], v[44:59]// 000000004B8C: D3AE002C 1CB23160
	ds_read_b64_tr_b8 a[88:89], v5 offset:1024                 // 000000004B94: DBC40400 58000005
	ds_read_b64_tr_b8 a[90:91], v6 offset:1024                 // 000000004B9C: DBC40400 5A000006
	ds_read_b64_tr_b8 a[92:93], v5 offset:19456                // 000000004BA4: DBC44C00 5C000005
	ds_read_b64_tr_b8 a[94:95], v6 offset:19456                // 000000004BAC: DBC44C00 5E000006
	ds_read_b64_tr_b8 a[96:97], v7 offset:1024                 // 000000004BB4: DBC40400 60000007
	ds_read_b64_tr_b8 a[98:99], v8 offset:1024                 // 000000004BBC: DBC40400 62000008
	ds_read_b64_tr_b8 a[100:101], v7 offset:19456              // 000000004BC4: DBC44C00 64000007
	ds_read_b64_tr_b8 a[102:103], v8 offset:19456              // 000000004BCC: DBC44C00 66000008
	v_mul_f32_e32 v109, v21, v109                              // 000000004BD4: 0ADADB15
	v_mul_f32_e32 v110, v21, v110                              // 000000004BD8: 0ADCDD15
	v_mul_f32_e32 v111, v21, v111                              // 000000004BDC: 0ADEDF15
	v_mul_f32_e32 v112, v21, v112                              // 000000004BE0: 0AE0E115
	v_mul_f32_e32 v113, v21, v113                              // 000000004BE4: 0AE2E315
	v_mul_f32_e32 v114, v21, v114                              // 000000004BE8: 0AE4E515
	v_mul_f32_e32 v115, v21, v115                              // 000000004BEC: 0AE6E715
	v_mul_f32_e32 v116, v21, v116                              // 000000004BF0: 0AE8E915
	v_mul_f32_e32 v117, v21, v117                              // 000000004BF4: 0AEAEB15
	v_mul_f32_e32 v118, v21, v118                              // 000000004BF8: 0AECED15
	v_mul_f32_e32 v119, v21, v119                              // 000000004BFC: 0AEEEF15
	v_mul_f32_e32 v120, v21, v120                              // 000000004C00: 0AF0F115
	v_mfma_f32_32x32x64_f8f6f4 v[44:59], a[104:111], a[32:39], v[44:59]// 000000004C04: D3AE002C 1CB24168
	buffer_load_dwordx4 v217, s[20:23], 0 offen offset:384 lds // 000000004C0C: E05D1180 800500D9
	s_add_i32 m0, m0, 0x3c0                                    // 000000004C14: 817CFF7C 000003C0
	v_mul_f32_e32 v121, v21, v121                              // 000000004C1C: 0AF2F315
	v_mul_f32_e32 v122, v21, v122                              // 000000004C20: 0AF4F515
	v_mul_f32_e32 v123, v21, v123                              // 000000004C24: 0AF6F715
	v_mul_f32_e32 v124, v21, v124                              // 000000004C28: 0AF8F915
	v_mul_f32_e32 v125, v21, v125                              // 000000004C2C: 0AFAFB15
	v_mul_f32_e32 v126, v21, v126                              // 000000004C30: 0AFCFD15
	v_mul_f32_e32 v127, v21, v127                              // 000000004C34: 0AFEFF15
	v_mul_f32_e32 v128, v21, v128                              // 000000004C38: 0B010115
	v_mul_f32_e32 v129, v21, v129                              // 000000004C3C: 0B030315
	v_mul_f32_e32 v130, v21, v130                              // 000000004C40: 0B050515
	v_mul_f32_e32 v131, v21, v131                              // 000000004C44: 0B070715
	v_mul_f32_e32 v132, v21, v132                              // 000000004C48: 0B090915
	v_mfma_f32_32x32x64_f8f6f4 v[44:59], a[112:119], a[40:47], v[44:59]// 000000004C4C: D3AE002C 1CB25170
	s_waitcnt lgkmcnt(0)                                       // 000000004C54: BF8CC07F
	ds_read_b64_tr_b8 a[104:105], v5 offset:2048               // 000000004C58: DBC40800 68000005
	ds_read_b64_tr_b8 a[106:107], v6 offset:2048               // 000000004C60: DBC40800 6A000006
	ds_read_b64_tr_b8 a[108:109], v5 offset:20480              // 000000004C68: DBC45000 6C000005
	ds_read_b64_tr_b8 a[110:111], v6 offset:20480              // 000000004C70: DBC45000 6E000006
	ds_read_b64_tr_b8 a[112:113], v7 offset:2048               // 000000004C78: DBC40800 70000007
	ds_read_b64_tr_b8 a[114:115], v8 offset:2048               // 000000004C80: DBC40800 72000008
	ds_read_b64_tr_b8 a[116:117], v7 offset:20480              // 000000004C88: DBC45000 74000007
	ds_read_b64_tr_b8 a[118:119], v8 offset:20480              // 000000004C90: DBC45000 76000008
	v_mul_f32_e32 v133, v21, v133                              // 000000004C98: 0B0B0B15
	v_mul_f32_e32 v134, v21, v134                              // 000000004C9C: 0B0D0D15
	v_mul_f32_e32 v135, v21, v135                              // 000000004CA0: 0B0F0F15
	v_mul_f32_e32 v136, v21, v136                              // 000000004CA4: 0B111115
	v_mul_f32_e32 v137, v21, v137                              // 000000004CA8: 0B131315
	v_mul_f32_e32 v138, v21, v138                              // 000000004CAC: 0B151515
	v_mul_f32_e32 v139, v21, v139                              // 000000004CB0: 0B171715
	v_mfma_f32_32x32x64_f8f6f4 v[44:59], a[120:127], a[48:55], v[44:59]// 000000004CB4: D3AE002C 1CB26178
	buffer_load_dwordx4 v217, s[20:23], 0 offen offset:448 lds // 000000004CBC: E05D11C0 800500D9
	s_add_i32 m0, m0, 0x3c0                                    // 000000004CC4: 817CFF7C 000003C0
	v_permlane32_swap_b32_e32 v60, v62                         // 000000004CCC: 7E78B53E
	v_permlane32_swap_b32_e32 v61, v63                         // 000000004CD0: 7E7AB53F
	v_swap_b32 v61, v62                                        // 000000004CD4: 7E7AA33E
	v_permlane32_swap_b32_e32 v64, v66                         // 000000004CD8: 7E80B542
	v_permlane32_swap_b32_e32 v65, v67                         // 000000004CDC: 7E82B543
	v_swap_b32 v65, v66                                        // 000000004CE0: 7E82A342
	v_mfma_f32_32x32x64_f8f6f4 v[44:59], a[128:135], a[56:63], v[44:59]// 000000004CE4: D3AE002C 1CB27180
	ds_read_b64_tr_b8 a[120:121], v5 offset:3072               // 000000004CEC: DBC40C00 78000005
	ds_read_b64_tr_b8 a[122:123], v6 offset:3072               // 000000004CF4: DBC40C00 7A000006
	ds_read_b64_tr_b8 a[124:125], v5 offset:21504              // 000000004CFC: DBC45400 7C000005
	ds_read_b64_tr_b8 a[126:127], v6 offset:21504              // 000000004D04: DBC45400 7E000006
	ds_read_b64_tr_b8 a[128:129], v7 offset:3072               // 000000004D0C: DBC40C00 80000007
	ds_read_b64_tr_b8 a[130:131], v8 offset:3072               // 000000004D14: DBC40C00 82000008
	ds_read_b64_tr_b8 a[132:133], v7 offset:21504              // 000000004D1C: DBC45400 84000007
	ds_read_b64_tr_b8 a[134:135], v8 offset:21504              // 000000004D24: DBC45400 86000008
	v_mov_b32_e32 v36, v21                                     // 000000004D2C: 7E480315
	v_mov_b32_e32 v37, v21                                     // 000000004D30: 7E4A0315
	v_pk_mul_f32 v[140:141], v[36:37], v[140:141]              // 000000004D34: D3B1408C 18031924
	v_pk_mul_f32 v[142:143], v[36:37], v[142:143]              // 000000004D3C: D3B1408E 18031D24
	v_pk_mul_f32 v[144:145], v[36:37], v[144:145]              // 000000004D44: D3B14090 18032124
	v_pk_mul_f32 v[146:147], v[36:37], v[146:147]              // 000000004D4C: D3B14092 18032524
	v_pk_mul_f32 v[148:149], v[36:37], v[148:149]              // 000000004D54: D3B14094 18032924
	v_pk_mul_f32 v[150:151], v[36:37], v[150:151]              // 000000004D5C: D3B14096 18032D24
	v_pk_mul_f32 v[152:153], v[36:37], v[152:153]              // 000000004D64: D3B14098 18033124
	v_pk_mul_f32 v[154:155], v[36:37], v[154:155]              // 000000004D6C: D3B1409A 18033524
	v_pk_mul_f32 v[156:157], v[36:37], v[156:157]              // 000000004D74: D3B1409C 18033924
	v_pk_mul_f32 v[158:159], v[36:37], v[158:159]              // 000000004D7C: D3B1409E 18033D24
	v_pk_mul_f32 v[160:161], v[36:37], v[160:161]              // 000000004D84: D3B140A0 18034124
	v_pk_mul_f32 v[162:163], v[36:37], v[162:163]              // 000000004D8C: D3B140A2 18034524
	v_pk_mul_f32 v[164:165], v[36:37], v[164:165]              // 000000004D94: D3B140A4 18034924
	v_pk_mul_f32 v[166:167], v[36:37], v[166:167]              // 000000004D9C: D3B140A6 18034D24
	v_pk_mul_f32 v[168:169], v[36:37], v[168:169]              // 000000004DA4: D3B140A8 18035124
	v_pk_mul_f32 v[170:171], v[36:37], v[170:171]              // 000000004DAC: D3B140AA 18035524
	v_pk_mul_f32 v[172:173], v[36:37], v[172:173]              // 000000004DB4: D3B140AC 18035924
	v_pk_mul_f32 v[174:175], v[36:37], v[174:175]              // 000000004DBC: D3B140AE 18035D24
	v_pk_mul_f32 v[176:177], v[36:37], v[176:177]              // 000000004DC4: D3B140B0 18036124
	v_pk_mul_f32 v[178:179], v[36:37], v[178:179]              // 000000004DCC: D3B140B2 18036524
	v_pk_mul_f32 v[180:181], v[36:37], v[180:181]              // 000000004DD4: D3B140B4 18036924
	v_pk_mul_f32 v[182:183], v[36:37], v[182:183]              // 000000004DDC: D3B140B6 18036D24
	v_pk_mul_f32 v[184:185], v[36:37], v[184:185]              // 000000004DE4: D3B140B8 18037124
	v_pk_mul_f32 v[186:187], v[36:37], v[186:187]              // 000000004DEC: D3B140BA 18037524
	v_pk_mul_f32 v[188:189], v[36:37], v[188:189]              // 000000004DF4: D3B140BC 18037924
	v_pk_mul_f32 v[190:191], v[36:37], v[190:191]              // 000000004DFC: D3B140BE 18037D24
	v_pk_mul_f32 v[192:193], v[36:37], v[192:193]              // 000000004E04: D3B140C0 18038124
	v_pk_mul_f32 v[194:195], v[36:37], v[194:195]              // 000000004E0C: D3B140C2 18038524
	v_pk_mul_f32 v[196:197], v[36:37], v[196:197]              // 000000004E14: D3B140C4 18038924
	v_pk_mul_f32 v[198:199], v[36:37], v[198:199]              // 000000004E1C: D3B140C6 18038D24
	v_pk_mul_f32 v[200:201], v[36:37], v[200:201]              // 000000004E24: D3B140C8 18039124
	v_pk_mul_f32 v[202:203], v[36:37], v[202:203]              // 000000004E2C: D3B140CA 18039524
	v_mfma_f32_32x32x64_f8f6f4 v[44:59], a[136:143], a[64:71], v[44:59]// 000000004E34: D3AE002C 1CB28188
	buffer_load_dwordx4 v217, s[20:23], 0 offen offset:512 lds // 000000004E3C: E05D1200 800500D9
	s_add_i32 m0, m0, 0x3c0                                    // 000000004E44: 817CFF7C 000003C0
	s_addk_i32 s70, 0x1                                        // 000000004E4C: B7460001
	s_cmp_lt_i32 s70, s71                                      // 000000004E50: BF044746
	s_cbranch_scc0 label_3190                                  // 000000004E54: BF8401CE
	v_mul_u32_u24_e64 v217, v33, s68                           // 000000004E58: D10800D9 00008921
	v_add_u32_e32 v217, v217, v1                               // 000000004E60: 69B203D9
	s_waitcnt vmcnt(10)                                        // 000000004E64: BF8C0F7A
	s_barrier                                                  // 000000004E68: BF8A0000
	s_waitcnt lgkmcnt(8)                                       // 000000004E6C: BF8CC87F
	v_mfma_f32_32x32x64_f8f6f4 v[76:91], a[72:79], v[60:67], v[76:91]// 000000004E70: D3AE004C 0D327948
	ds_read_b128 a[72:75], v26                                 // 000000004E78: DBFE0000 4800001A
	ds_read_b128 a[76:79], v27                                 // 000000004E80: DBFE0000 4C00001B
	v_mov_b32_e32 v213, v44                                    // 000000004E88: 7FAA032C
	v_max3_f32 v213, v44, v45, v213                            // 000000004E8C: D1D300D5 07565B2C
	v_max3_f32 v213, v46, v47, v213                            // 000000004E94: D1D300D5 07565F2E
	v_max3_f32 v213, v48, v49, v213                            // 000000004E9C: D1D300D5 07566330
	v_max3_f32 v213, v50, v51, v213                            // 000000004EA4: D1D300D5 07566732
	v_max3_f32 v213, v52, v53, v213                            // 000000004EAC: D1D300D5 07566B34
	v_max3_f32 v213, v54, v55, v213                            // 000000004EB4: D1D300D5 07566F36
	v_max3_f32 v213, v56, v57, v213                            // 000000004EBC: D1D300D5 07567338
	v_max3_f32 v213, v58, v59, v213                            // 000000004EC4: D1D300D5 0756773A
	v_mov_b32_e32 v35, v213                                    // 000000004ECC: 7E4603D5
	v_mov_b32_e32 v36, v213                                    // 000000004ED0: 7E4803D5
	s_nop 0                                                    // 000000004ED4: BF800000
	v_mfma_f32_32x32x64_f8f6f4 v[92:107], a[80:87], v[60:67], v[92:107]// 000000004ED8: D3AE005C 0D727950
	v_permlane32_swap_b32_e32 v35, v36                         // 000000004EE0: 7E46B524
	v_max3_f32 v213, v35, v36, v213                            // 000000004EE4: D1D300D5 07564923
	ds_write_b32 v41, v213                                     // 000000004EEC: D81A0000 0000D529
	s_mov_b32 s56, 0x2000                                      // 000000004EF4: BEB800FF 00002000
	s_mul_i32 s57, s7, 0x2400                                  // 000000004EFC: 9239FF07 00002400
	s_add_u32 m0, s56, s57                                     // 000000004F04: 807C3938
	buffer_load_dwordx4 v217, s[20:23], 0 offen lds            // 000000004F08: E05D1000 800500D9
	s_add_i32 m0, m0, 0x3c0                                    // 000000004F10: 817CFF7C 000003C0
	buffer_load_dwordx4 v217, s[20:23], 0 offen offset:64 lds  // 000000004F18: E05D1040 800500D9
	s_add_i32 m0, m0, 0x3c0                                    // 000000004F20: 817CFF7C 000003C0
	s_waitcnt lgkmcnt(0)                                       // 000000004F28: BF8CC07F
	s_barrier                                                  // 000000004F2C: BF8A0000
	v_mfma_f32_32x32x64_f8f6f4 v[108:123], a[88:95], v[60:67], v[108:123]// 000000004F30: D3AE006C 0DB27958
	ds_read_b32 v35, v40                                       // 000000004F38: D86C0000 23000028
	ds_read_b32 v36, v40 offset:256                            // 000000004F40: D86C0100 24000028
	s_waitcnt lgkmcnt(0)                                       // 000000004F48: BF8CC07F
	v_max3_f32 v213, v35, v36, v213                            // 000000004F4C: D1D300D5 07564923
	v_mov_b32_e32 v35, 0xff800000                              // 000000004F54: 7E4602FF FF800000
	v_cmp_eq_u32_e64 s[36:37], v35, v2                         // 000000004F5C: D0CA0024 00020523
	v_max_f32_e32 v216, v213, v2                               // 000000004F64: 17B005D5
	v_sub_f32_e32 v21, v2, v216                                // 000000004F68: 042BB102
	v_cndmask_b32_e64 v21, v21, 0, s[36:37]                    // 000000004F6C: D1000015 00910115
	v_mfma_f32_32x32x64_f8f6f4 v[124:139], a[96:103], v[60:67], v[124:139]// 000000004F74: D3AE007C 0DF27960
	buffer_load_dwordx4 v217, s[20:23], 0 offen offset:128 lds // 000000004F7C: E05D1080 800500D9
	s_add_i32 m0, m0, 0x3c0                                    // 000000004F84: 817CFF7C 000003C0
	v_mov_b32_e32 v2, v216                                     // 000000004F8C: 7E0403D8
	v_mul_f32_e32 v212, s5, v216                               // 000000004F90: 0BA9B005
	v_mul_f32_e32 v21, s5, v21                                 // 000000004F94: 0A2A2A05
	v_exp_f32_e32 v21, v21                                     // 000000004F98: 7E2A4115
	v_fma_f32 v44, v44, s5, -v212                              // 000000004F9C: D1CB002C 87500B2C
	v_fma_f32 v45, v45, s5, -v212                              // 000000004FA4: D1CB002D 87500B2D
	v_fma_f32 v46, v46, s5, -v212                              // 000000004FAC: D1CB002E 87500B2E
	v_fma_f32 v47, v47, s5, -v212                              // 000000004FB4: D1CB002F 87500B2F
	v_fma_f32 v48, v48, s5, -v212                              // 000000004FBC: D1CB0030 87500B30
	v_fma_f32 v49, v49, s5, -v212                              // 000000004FC4: D1CB0031 87500B31
	v_fma_f32 v50, v50, s5, -v212                              // 000000004FCC: D1CB0032 87500B32
	v_fma_f32 v51, v51, s5, -v212                              // 000000004FD4: D1CB0033 87500B33
	v_fma_f32 v52, v52, s5, -v212                              // 000000004FDC: D1CB0034 87500B34
	v_mfma_f32_32x32x64_f8f6f4 v[140:155], a[104:111], v[60:67], v[140:155]// 000000004FE4: D3AE008C 0E327968
	ds_read_b128 a[80:83], v26 offset:1024                     // 000000004FEC: DBFE0400 5000001A
	ds_read_b128 a[84:87], v27 offset:1024                     // 000000004FF4: DBFE0400 5400001B
	ds_read_b128 a[88:91], v26 offset:2048                     // 000000004FFC: DBFE0800 5800001A
	ds_read_b128 a[92:95], v27 offset:2048                     // 000000005004: DBFE0800 5C00001B
	ds_read_b128 a[96:99], v26 offset:3072                     // 00000000500C: DBFE0C00 6000001A
	ds_read_b128 a[100:103], v27 offset:3072                   // 000000005014: DBFE0C00 6400001B
	v_fma_f32 v53, v53, s5, -v212                              // 00000000501C: D1CB0035 87500B35
	v_fma_f32 v54, v54, s5, -v212                              // 000000005024: D1CB0036 87500B36
	v_fma_f32 v55, v55, s5, -v212                              // 00000000502C: D1CB0037 87500B37
	v_fma_f32 v56, v56, s5, -v212                              // 000000005034: D1CB0038 87500B38
	v_fma_f32 v57, v57, s5, -v212                              // 00000000503C: D1CB0039 87500B39
	v_fma_f32 v58, v58, s5, -v212                              // 000000005044: D1CB003A 87500B3A
	v_fma_f32 v59, v59, s5, -v212                              // 00000000504C: D1CB003B 87500B3B
	v_exp_f32_e32 v44, v44                                     // 000000005054: 7E58412C
	v_exp_f32_e32 v45, v45                                     // 000000005058: 7E5A412D
	v_mfma_f32_32x32x64_f8f6f4 v[156:171], a[112:119], v[60:67], v[156:171]// 00000000505C: D3AE009C 0E727970
	buffer_load_dwordx4 v217, s[20:23], 0 offen offset:192 lds // 000000005064: E05D10C0 800500D9
	s_add_i32 m0, m0, 0x3c0                                    // 00000000506C: 817CFF7C 000003C0
	v_exp_f32_e32 v46, v46                                     // 000000005074: 7E5C412E
	v_exp_f32_e32 v47, v47                                     // 000000005078: 7E5E412F
	v_exp_f32_e32 v48, v48                                     // 00000000507C: 7E604130
	v_exp_f32_e32 v49, v49                                     // 000000005080: 7E624131
	v_exp_f32_e32 v50, v50                                     // 000000005084: 7E644132
	v_exp_f32_e32 v51, v51                                     // 000000005088: 7E664133
	v_exp_f32_e32 v52, v52                                     // 00000000508C: 7E684134
	v_mfma_f32_32x32x64_f8f6f4 v[172:187], a[120:127], v[60:67], v[172:187]// 000000005090: D3AE00AC 0EB27978
	ds_read_b128 a[104:107], v26 offset:4096                   // 000000005098: DBFE1000 6800001A
	ds_read_b128 a[108:111], v27 offset:4096                   // 0000000050A0: DBFE1000 6C00001B
	ds_read_b128 a[112:115], v26 offset:5120                   // 0000000050A8: DBFE1400 7000001A
	ds_read_b128 a[116:119], v27 offset:5120                   // 0000000050B0: DBFE1400 7400001B
	ds_read_b128 a[120:123], v26 offset:6144                   // 0000000050B8: DBFE1800 7800001A
	ds_read_b128 a[124:127], v27 offset:6144                   // 0000000050C0: DBFE1800 7C00001B
	v_exp_f32_e32 v53, v53                                     // 0000000050C8: 7E6A4135
	v_exp_f32_e32 v54, v54                                     // 0000000050CC: 7E6C4136
	v_exp_f32_e32 v55, v55                                     // 0000000050D0: 7E6E4137
	v_exp_f32_e32 v56, v56                                     // 0000000050D4: 7E704138
	v_exp_f32_e32 v57, v57                                     // 0000000050D8: 7E724139
	v_mfma_f32_32x32x64_f8f6f4 v[188:203], a[128:135], v[60:67], v[188:203]// 0000000050DC: D3AE00BC 0EF27980
	ds_read_b128 a[128:131], v26 offset:7168                   // 0000000050E4: DBFE1C00 8000001A
	ds_read_b128 a[132:135], v27 offset:7168                   // 0000000050EC: DBFE1C00 8400001B
	ds_read_b128 a[136:139], v26 offset:8192                   // 0000000050F4: DBFE2000 8800001A
	ds_read_b128 a[140:143], v27 offset:8192                   // 0000000050FC: DBFE2000 8C00001B
	v_exp_f32_e32 v58, v58                                     // 000000005104: 7E74413A
	v_exp_f32_e32 v59, v59                                     // 000000005108: 7E76413B
	v_mul_f32_e32 v4, v21, v4                                  // 00000000510C: 0A080915
	v_mov_b32_e32 v35, v44                                     // 000000005110: 7E46032C
	v_add_f32_e32 v35, v45, v35                                // 000000005114: 0246472D
	v_add_f32_e32 v35, v46, v35                                // 000000005118: 0246472E
	v_add_f32_e32 v35, v47, v35                                // 00000000511C: 0246472F
	v_add_f32_e32 v35, v48, v35                                // 000000005120: 02464730
	v_add_f32_e32 v35, v49, v35                                // 000000005124: 02464731
	;; [unrolled: 1-line block ×3, first 2 shown]
	v_add_f32_e32 v35, v51, v35                                // 00000000512C: 02464733
	v_add_f32_e32 v35, v52, v35                                // 000000005130: 02464734
	v_add_f32_e32 v35, v53, v35                                // 000000005134: 02464735
	;; [unrolled: 1-line block ×3, first 2 shown]
	v_add_f32_e32 v35, v55, v35                                // 00000000513C: 02464737
	v_add_f32_e32 v35, v56, v35                                // 000000005140: 02464738
	v_add_f32_e32 v35, v57, v35                                // 000000005144: 02464739
	v_add_f32_e32 v35, v58, v35                                // 000000005148: 0246473A
	v_add_f32_e32 v35, v59, v35                                // 00000000514C: 0246473B
	v_add_f32_e32 v4, v35, v4                                  // 000000005150: 02080923
	v_cvt_pk_fp8_f32 v44, v44, v45                             // 000000005154: D2A2002C 00025B2C
	v_cvt_pk_fp8_f32 v44, v46, v47 op_sel:[0,0,1]              // 00000000515C: D2A2402C 00025F2E
	v_cvt_pk_fp8_f32 v45, v48, v49                             // 000000005164: D2A2002D 00026330
	v_cvt_pk_fp8_f32 v45, v50, v51 op_sel:[0,0,1]              // 00000000516C: D2A2402D 00026732
	v_cvt_pk_fp8_f32 v46, v52, v53                             // 000000005174: D2A2002E 00026B34
	v_cvt_pk_fp8_f32 v46, v54, v55 op_sel:[0,0,1]              // 00000000517C: D2A2402E 00026F36
	v_cvt_pk_fp8_f32 v47, v56, v57                             // 000000005184: D2A2002F 00027338
	v_cvt_pk_fp8_f32 v47, v58, v59 op_sel:[0,0,1]              // 00000000518C: D2A2402F 0002773A
	s_waitcnt lgkmcnt(8)                                       // 000000005194: BF8CC87F
	v_mfma_f32_32x32x64_f8f6f4 v[60:75], a[72:79], a[0:7], 0   // 000000005198: D3AE003C 1A020148
	ds_write_b128 v43, v[44:47] offset:1024                    // 0000000051A0: D9BE0400 00002C2B
	buffer_load_dword v31, v34, s[24:27], 0 offen              // 0000000051A8: E0501000 80061F22
	buffer_load_dwordx4 v217, s[20:23], 0 offen offset:256 lds // 0000000051B0: E05D1100 800500D9
	s_add_i32 m0, m0, 0x3c0                                    // 0000000051B8: 817CFF7C 000003C0
	v_mul_f32_e32 v76, v21, v76                                // 0000000051C0: 0A989915
	v_mul_f32_e32 v77, v21, v77                                // 0000000051C4: 0A9A9B15
	v_mul_f32_e32 v78, v21, v78                                // 0000000051C8: 0A9C9D15
	v_mul_f32_e32 v79, v21, v79                                // 0000000051CC: 0A9E9F15
	v_mul_f32_e32 v80, v21, v80                                // 0000000051D0: 0AA0A115
	v_mul_f32_e32 v81, v21, v81                                // 0000000051D4: 0AA2A315
	v_mul_f32_e32 v82, v21, v82                                // 0000000051D8: 0AA4A515
	v_mul_f32_e32 v83, v21, v83                                // 0000000051DC: 0AA6A715
	v_mul_f32_e32 v84, v21, v84                                // 0000000051E0: 0AA8A915
	v_mfma_f32_32x32x64_f8f6f4 v[60:75], a[80:87], a[8:15], v[60:75]// 0000000051E4: D3AE003C 1CF21150
	ds_read_b64_tr_b8 a[72:73], v9                             // 0000000051EC: DBC40000 48000009
	ds_read_b64_tr_b8 a[74:75], v10                            // 0000000051F4: DBC40000 4A00000A
	ds_read_b64_tr_b8 a[76:77], v9 offset:18432                // 0000000051FC: DBC44800 4C000009
	ds_read_b64_tr_b8 a[78:79], v10 offset:18432               // 000000005204: DBC44800 4E00000A
	ds_read_b64_tr_b8 a[80:81], v11                            // 00000000520C: DBC40000 5000000B
	ds_read_b64_tr_b8 a[82:83], v12                            // 000000005214: DBC40000 5200000C
	ds_read_b64_tr_b8 a[84:85], v11 offset:18432               // 00000000521C: DBC44800 5400000B
	ds_read_b64_tr_b8 a[86:87], v12 offset:18432               // 000000005224: DBC44800 5600000C
	v_mul_f32_e32 v85, v21, v85                                // 00000000522C: 0AAAAB15
	v_mul_f32_e32 v86, v21, v86                                // 000000005230: 0AACAD15
	v_mul_f32_e32 v87, v21, v87                                // 000000005234: 0AAEAF15
	v_mul_f32_e32 v88, v21, v88                                // 000000005238: 0AB0B115
	v_mul_f32_e32 v89, v21, v89                                // 00000000523C: 0AB2B315
	v_mul_f32_e32 v90, v21, v90                                // 000000005240: 0AB4B515
	v_mul_f32_e32 v91, v21, v91                                // 000000005244: 0AB6B715
	v_mul_f32_e32 v92, v21, v92                                // 000000005248: 0AB8B915
	v_mul_f32_e32 v93, v21, v93                                // 00000000524C: 0ABABB15
	v_mul_f32_e32 v94, v21, v94                                // 000000005250: 0ABCBD15
	v_mul_f32_e32 v95, v21, v95                                // 000000005254: 0ABEBF15
	v_mul_f32_e32 v96, v21, v96                                // 000000005258: 0AC0C115
	s_waitcnt lgkmcnt(0)                                       // 00000000525C: BF8CC07F
	s_barrier                                                  // 000000005260: BF8A0000
	v_mfma_f32_32x32x64_f8f6f4 v[60:75], a[88:95], a[16:23], v[60:75]// 000000005264: D3AE003C 1CF22158
	ds_read_b128 v[44:47], v42 offset:1024                     // 00000000526C: D9FE0400 2C00002A
	ds_read_b128 v[48:51], v42 offset:2048                     // 000000005274: D9FE0800 3000002A
	buffer_load_dwordx4 v217, s[20:23], 0 offen offset:320 lds // 00000000527C: E05D1140 800500D9
	s_add_i32 m0, m0, 0x3c0                                    // 000000005284: 817CFF7C 000003C0
	v_mul_f32_e32 v97, v21, v97                                // 00000000528C: 0AC2C315
	v_mul_f32_e32 v98, v21, v98                                // 000000005290: 0AC4C515
	v_mul_f32_e32 v99, v21, v99                                // 000000005294: 0AC6C715
	v_mul_f32_e32 v100, v21, v100                              // 000000005298: 0AC8C915
	v_mul_f32_e32 v101, v21, v101                              // 00000000529C: 0ACACB15
	v_mul_f32_e32 v102, v21, v102                              // 0000000052A0: 0ACCCD15
	v_mul_f32_e32 v103, v21, v103                              // 0000000052A4: 0ACECF15
	v_mul_f32_e32 v104, v21, v104                              // 0000000052A8: 0AD0D115
	v_mul_f32_e32 v105, v21, v105                              // 0000000052AC: 0AD2D315
	v_mul_f32_e32 v106, v21, v106                              // 0000000052B0: 0AD4D515
	v_mul_f32_e32 v107, v21, v107                              // 0000000052B4: 0AD6D715
	v_mul_f32_e32 v108, v21, v108                              // 0000000052B8: 0AD8D915
	v_add_u32_e32 v34, s73, v34                                // 0000000052BC: 68444449
	v_mfma_f32_32x32x64_f8f6f4 v[60:75], a[96:103], a[24:31], v[60:75]// 0000000052C0: D3AE003C 1CF23160
	ds_read_b64_tr_b8 a[88:89], v9 offset:1024                 // 0000000052C8: DBC40400 58000009
	ds_read_b64_tr_b8 a[90:91], v10 offset:1024                // 0000000052D0: DBC40400 5A00000A
	ds_read_b64_tr_b8 a[92:93], v9 offset:19456                // 0000000052D8: DBC44C00 5C000009
	ds_read_b64_tr_b8 a[94:95], v10 offset:19456               // 0000000052E0: DBC44C00 5E00000A
	ds_read_b64_tr_b8 a[96:97], v11 offset:1024                // 0000000052E8: DBC40400 6000000B
	ds_read_b64_tr_b8 a[98:99], v12 offset:1024                // 0000000052F0: DBC40400 6200000C
	ds_read_b64_tr_b8 a[100:101], v11 offset:19456             // 0000000052F8: DBC44C00 6400000B
	ds_read_b64_tr_b8 a[102:103], v12 offset:19456             // 000000005300: DBC44C00 6600000C
	v_mul_f32_e32 v109, v21, v109                              // 000000005308: 0ADADB15
	v_mul_f32_e32 v110, v21, v110                              // 00000000530C: 0ADCDD15
	v_mul_f32_e32 v111, v21, v111                              // 000000005310: 0ADEDF15
	v_mul_f32_e32 v112, v21, v112                              // 000000005314: 0AE0E115
	v_mul_f32_e32 v113, v21, v113                              // 000000005318: 0AE2E315
	v_mul_f32_e32 v114, v21, v114                              // 00000000531C: 0AE4E515
	v_mul_f32_e32 v115, v21, v115                              // 000000005320: 0AE6E715
	v_mul_f32_e32 v116, v21, v116                              // 000000005324: 0AE8E915
	v_mul_f32_e32 v117, v21, v117                              // 000000005328: 0AEAEB15
	v_mul_f32_e32 v118, v21, v118                              // 00000000532C: 0AECED15
	v_mul_f32_e32 v119, v21, v119                              // 000000005330: 0AEEEF15
	v_mul_f32_e32 v120, v21, v120                              // 000000005334: 0AF0F115
	v_mfma_f32_32x32x64_f8f6f4 v[60:75], a[104:111], a[32:39], v[60:75]// 000000005338: D3AE003C 1CF24168
	buffer_load_dwordx4 v217, s[20:23], 0 offen offset:384 lds // 000000005340: E05D1180 800500D9
	s_add_i32 m0, m0, 0x3c0                                    // 000000005348: 817CFF7C 000003C0
	v_mul_f32_e32 v121, v21, v121                              // 000000005350: 0AF2F315
	v_mul_f32_e32 v122, v21, v122                              // 000000005354: 0AF4F515
	v_mul_f32_e32 v123, v21, v123                              // 000000005358: 0AF6F715
	v_mul_f32_e32 v124, v21, v124                              // 00000000535C: 0AF8F915
	v_mul_f32_e32 v125, v21, v125                              // 000000005360: 0AFAFB15
	v_mul_f32_e32 v126, v21, v126                              // 000000005364: 0AFCFD15
	v_mul_f32_e32 v127, v21, v127                              // 000000005368: 0AFEFF15
	v_mul_f32_e32 v128, v21, v128                              // 00000000536C: 0B010115
	v_mul_f32_e32 v129, v21, v129                              // 000000005370: 0B030315
	v_mul_f32_e32 v130, v21, v130                              // 000000005374: 0B050515
	v_mul_f32_e32 v131, v21, v131                              // 000000005378: 0B070715
	v_mul_f32_e32 v132, v21, v132                              // 00000000537C: 0B090915
	v_mfma_f32_32x32x64_f8f6f4 v[60:75], a[112:119], a[40:47], v[60:75]// 000000005380: D3AE003C 1CF25170
	s_waitcnt lgkmcnt(0)                                       // 000000005388: BF8CC07F
	ds_read_b64_tr_b8 a[104:105], v9 offset:2048               // 00000000538C: DBC40800 68000009
	ds_read_b64_tr_b8 a[106:107], v10 offset:2048              // 000000005394: DBC40800 6A00000A
	ds_read_b64_tr_b8 a[108:109], v9 offset:20480              // 00000000539C: DBC45000 6C000009
	ds_read_b64_tr_b8 a[110:111], v10 offset:20480             // 0000000053A4: DBC45000 6E00000A
	ds_read_b64_tr_b8 a[112:113], v11 offset:2048              // 0000000053AC: DBC40800 7000000B
	ds_read_b64_tr_b8 a[114:115], v12 offset:2048              // 0000000053B4: DBC40800 7200000C
	ds_read_b64_tr_b8 a[116:117], v11 offset:20480             // 0000000053BC: DBC45000 7400000B
	ds_read_b64_tr_b8 a[118:119], v12 offset:20480             // 0000000053C4: DBC45000 7600000C
	v_mul_f32_e32 v133, v21, v133                              // 0000000053CC: 0B0B0B15
	v_mul_f32_e32 v134, v21, v134                              // 0000000053D0: 0B0D0D15
	v_mul_f32_e32 v135, v21, v135                              // 0000000053D4: 0B0F0F15
	v_mul_f32_e32 v136, v21, v136                              // 0000000053D8: 0B111115
	v_mul_f32_e32 v137, v21, v137                              // 0000000053DC: 0B131315
	v_mul_f32_e32 v138, v21, v138                              // 0000000053E0: 0B151515
	v_mul_f32_e32 v139, v21, v139                              // 0000000053E4: 0B171715
	v_mfma_f32_32x32x64_f8f6f4 v[60:75], a[120:127], a[48:55], v[60:75]// 0000000053E8: D3AE003C 1CF26178
	buffer_load_dwordx4 v217, s[20:23], 0 offen offset:448 lds // 0000000053F0: E05D11C0 800500D9
	s_add_i32 m0, m0, 0x3c0                                    // 0000000053F8: 817CFF7C 000003C0
	v_permlane32_swap_b32_e32 v44, v46                         // 000000005400: 7E58B52E
	v_permlane32_swap_b32_e32 v45, v47                         // 000000005404: 7E5AB52F
	v_swap_b32 v45, v46                                        // 000000005408: 7E5AA32E
	v_permlane32_swap_b32_e32 v48, v50                         // 00000000540C: 7E60B532
	v_permlane32_swap_b32_e32 v49, v51                         // 000000005410: 7E62B533
	v_swap_b32 v49, v50                                        // 000000005414: 7E62A332
	v_mfma_f32_32x32x64_f8f6f4 v[60:75], a[128:135], a[56:63], v[60:75]// 000000005418: D3AE003C 1CF27180
	ds_read_b64_tr_b8 a[120:121], v9 offset:3072               // 000000005420: DBC40C00 78000009
	ds_read_b64_tr_b8 a[122:123], v10 offset:3072              // 000000005428: DBC40C00 7A00000A
	ds_read_b64_tr_b8 a[124:125], v9 offset:21504              // 000000005430: DBC45400 7C000009
	ds_read_b64_tr_b8 a[126:127], v10 offset:21504             // 000000005438: DBC45400 7E00000A
	ds_read_b64_tr_b8 a[128:129], v11 offset:3072              // 000000005440: DBC40C00 8000000B
	ds_read_b64_tr_b8 a[130:131], v12 offset:3072              // 000000005448: DBC40C00 8200000C
	ds_read_b64_tr_b8 a[132:133], v11 offset:21504             // 000000005450: DBC45400 8400000B
	ds_read_b64_tr_b8 a[134:135], v12 offset:21504             // 000000005458: DBC45400 8600000C
	v_mov_b32_e32 v36, v21                                     // 000000005460: 7E480315
	v_mov_b32_e32 v37, v21                                     // 000000005464: 7E4A0315
	v_pk_mul_f32 v[140:141], v[36:37], v[140:141]              // 000000005468: D3B1408C 18031924
	v_pk_mul_f32 v[142:143], v[36:37], v[142:143]              // 000000005470: D3B1408E 18031D24
	v_pk_mul_f32 v[144:145], v[36:37], v[144:145]              // 000000005478: D3B14090 18032124
	v_pk_mul_f32 v[146:147], v[36:37], v[146:147]              // 000000005480: D3B14092 18032524
	v_pk_mul_f32 v[148:149], v[36:37], v[148:149]              // 000000005488: D3B14094 18032924
	v_pk_mul_f32 v[150:151], v[36:37], v[150:151]              // 000000005490: D3B14096 18032D24
	v_pk_mul_f32 v[152:153], v[36:37], v[152:153]              // 000000005498: D3B14098 18033124
	v_pk_mul_f32 v[154:155], v[36:37], v[154:155]              // 0000000054A0: D3B1409A 18033524
	v_pk_mul_f32 v[156:157], v[36:37], v[156:157]              // 0000000054A8: D3B1409C 18033924
	v_pk_mul_f32 v[158:159], v[36:37], v[158:159]              // 0000000054B0: D3B1409E 18033D24
	v_pk_mul_f32 v[160:161], v[36:37], v[160:161]              // 0000000054B8: D3B140A0 18034124
	v_pk_mul_f32 v[162:163], v[36:37], v[162:163]              // 0000000054C0: D3B140A2 18034524
	v_pk_mul_f32 v[164:165], v[36:37], v[164:165]              // 0000000054C8: D3B140A4 18034924
	v_pk_mul_f32 v[166:167], v[36:37], v[166:167]              // 0000000054D0: D3B140A6 18034D24
	v_pk_mul_f32 v[168:169], v[36:37], v[168:169]              // 0000000054D8: D3B140A8 18035124
	v_pk_mul_f32 v[170:171], v[36:37], v[170:171]              // 0000000054E0: D3B140AA 18035524
	v_pk_mul_f32 v[172:173], v[36:37], v[172:173]              // 0000000054E8: D3B140AC 18035924
	v_pk_mul_f32 v[174:175], v[36:37], v[174:175]              // 0000000054F0: D3B140AE 18035D24
	v_pk_mul_f32 v[176:177], v[36:37], v[176:177]              // 0000000054F8: D3B140B0 18036124
	v_pk_mul_f32 v[178:179], v[36:37], v[178:179]              // 000000005500: D3B140B2 18036524
	v_pk_mul_f32 v[180:181], v[36:37], v[180:181]              // 000000005508: D3B140B4 18036924
	v_pk_mul_f32 v[182:183], v[36:37], v[182:183]              // 000000005510: D3B140B6 18036D24
	v_pk_mul_f32 v[184:185], v[36:37], v[184:185]              // 000000005518: D3B140B8 18037124
	v_pk_mul_f32 v[186:187], v[36:37], v[186:187]              // 000000005520: D3B140BA 18037524
	v_pk_mul_f32 v[188:189], v[36:37], v[188:189]              // 000000005528: D3B140BC 18037924
	v_pk_mul_f32 v[190:191], v[36:37], v[190:191]              // 000000005530: D3B140BE 18037D24
	v_pk_mul_f32 v[192:193], v[36:37], v[192:193]              // 000000005538: D3B140C0 18038124
	v_pk_mul_f32 v[194:195], v[36:37], v[194:195]              // 000000005540: D3B140C2 18038524
	v_pk_mul_f32 v[196:197], v[36:37], v[196:197]              // 000000005548: D3B140C4 18038924
	v_pk_mul_f32 v[198:199], v[36:37], v[198:199]              // 000000005550: D3B140C6 18038D24
	v_pk_mul_f32 v[200:201], v[36:37], v[200:201]              // 000000005558: D3B140C8 18039124
	v_pk_mul_f32 v[202:203], v[36:37], v[202:203]              // 000000005560: D3B140CA 18039524
	v_mfma_f32_32x32x64_f8f6f4 v[60:75], a[136:143], a[64:71], v[60:75]// 000000005568: D3AE003C 1CF28188
	buffer_load_dwordx4 v217, s[20:23], 0 offen offset:512 lds // 000000005570: E05D1200 800500D9
	s_add_i32 m0, m0, 0x3c0                                    // 000000005578: 817CFF7C 000003C0
	s_addk_i32 s70, 0x1                                        // 000000005580: B7460001
	s_cmp_lt_i32 s70, s71                                      // 000000005584: BF044746
	s_cbranch_scc0 label_3190                                  // 000000005588: BF840001
	s_branch label_14BC                                        // 00000000558C: BF82F8CB

0000000000005590 <label_3190>:
	s_nop 0                                                    // 000000005590: BF800000
	s_nop 0                                                    // 000000005594: BF800000
	s_branch label_3778                                        // 000000005598: BF820177

000000000000559c <label_319C>:
	v_mul_u32_u24_e64 v217, v30, s68                           // 00000000559C: D10800D9 0000891E
	v_add_u32_e32 v217, v217, v1                               // 0000000055A4: 69B203D9
	s_waitcnt vmcnt(10)                                        // 0000000055A8: BF8C0F7A
	s_barrier                                                  // 0000000055AC: BF8A0000
	s_mov_b32 s56, 0xb000                                      // 0000000055B0: BEB800FF 0000B000
	s_mul_i32 s57, s7, 0x2400                                  // 0000000055B8: 9239FF07 00002400
	s_add_u32 m0, s56, s57                                     // 0000000055C0: 807C3938
	buffer_load_dwordx4 v217, s[20:23], 0 offen lds            // 0000000055C4: E05D1000 800500D9
	s_add_i32 m0, m0, 0x3c0                                    // 0000000055CC: 817CFF7C 000003C0
	buffer_load_dwordx4 v217, s[20:23], 0 offen offset:64 lds  // 0000000055D4: E05D1040 800500D9
	s_add_i32 m0, m0, 0x3c0                                    // 0000000055DC: 817CFF7C 000003C0
	buffer_load_dwordx4 v217, s[20:23], 0 offen offset:128 lds // 0000000055E4: E05D1080 800500D9
	s_add_i32 m0, m0, 0x3c0                                    // 0000000055EC: 817CFF7C 000003C0
	buffer_load_dwordx4 v217, s[20:23], 0 offen offset:192 lds // 0000000055F4: E05D10C0 800500D9
	s_add_i32 m0, m0, 0x3c0                                    // 0000000055FC: 817CFF7C 000003C0
	buffer_load_dwordx4 v217, s[20:23], 0 offen offset:256 lds // 000000005604: E05D1100 800500D9
	s_add_i32 m0, m0, 0x3c0                                    // 00000000560C: 817CFF7C 000003C0
	buffer_load_dwordx4 v217, s[20:23], 0 offen offset:320 lds // 000000005614: E05D1140 800500D9
	s_add_i32 m0, m0, 0x3c0                                    // 00000000561C: 817CFF7C 000003C0
	buffer_load_dwordx4 v217, s[20:23], 0 offen offset:384 lds // 000000005624: E05D1180 800500D9
	s_add_i32 m0, m0, 0x3c0                                    // 00000000562C: 817CFF7C 000003C0
	buffer_load_dwordx4 v217, s[20:23], 0 offen offset:448 lds // 000000005634: E05D11C0 800500D9
	s_add_i32 m0, m0, 0x3c0                                    // 00000000563C: 817CFF7C 000003C0
	buffer_load_dwordx4 v217, s[20:23], 0 offen offset:512 lds // 000000005644: E05D1200 800500D9
	s_add_i32 m0, m0, 0x3c0                                    // 00000000564C: 817CFF7C 000003C0
	buffer_load_dword v32, v34, s[24:27], 0 offen              // 000000005654: E0501000 80062022
	v_add_u32_e32 v34, s73, v34                                // 00000000565C: 68444449
	v_mov_b32_e32 v213, 0xff800000                             // 000000005660: 7FAA02FF FF800000
	ds_write_b32 v41, v213                                     // 000000005668: D81A0000 0000D529
	s_waitcnt lgkmcnt(0)                                       // 000000005670: BF8CC07F
	s_barrier                                                  // 000000005674: BF8A0000
	ds_read_b32 v35, v40                                       // 000000005678: D86C0000 23000028
	ds_read_b32 v36, v40 offset:256                            // 000000005680: D86C0100 24000028
	s_waitcnt lgkmcnt(0)                                       // 000000005688: BF8CC07F
	s_barrier                                                  // 00000000568C: BF8A0000
	s_addk_i32 s70, 0x1                                        // 000000005690: B7460001
	s_cmp_lt_i32 s70, s71                                      // 000000005694: BF044746
	s_cbranch_scc0 label_3190                                  // 000000005698: BF84FFBD
	v_mul_u32_u24_e64 v217, v31, s68                           // 00000000569C: D10800D9 0000891F
	v_add_u32_e32 v217, v217, v1                               // 0000000056A4: 69B203D9
	s_waitcnt vmcnt(10)                                        // 0000000056A8: BF8C0F7A
	s_barrier                                                  // 0000000056AC: BF8A0000
	s_mov_b32 s56, 0x14000                                     // 0000000056B0: BEB800FF 00014000
	s_mul_i32 s57, s7, 0x2400                                  // 0000000056B8: 9239FF07 00002400
	s_add_u32 m0, s56, s57                                     // 0000000056C0: 807C3938
	buffer_load_dwordx4 v217, s[20:23], 0 offen lds            // 0000000056C4: E05D1000 800500D9
	s_add_i32 m0, m0, 0x3c0                                    // 0000000056CC: 817CFF7C 000003C0
	buffer_load_dwordx4 v217, s[20:23], 0 offen offset:64 lds  // 0000000056D4: E05D1040 800500D9
	s_add_i32 m0, m0, 0x3c0                                    // 0000000056DC: 817CFF7C 000003C0
	buffer_load_dwordx4 v217, s[20:23], 0 offen offset:128 lds // 0000000056E4: E05D1080 800500D9
	s_add_i32 m0, m0, 0x3c0                                    // 0000000056EC: 817CFF7C 000003C0
	buffer_load_dwordx4 v217, s[20:23], 0 offen offset:192 lds // 0000000056F4: E05D10C0 800500D9
	s_add_i32 m0, m0, 0x3c0                                    // 0000000056FC: 817CFF7C 000003C0
	buffer_load_dwordx4 v217, s[20:23], 0 offen offset:256 lds // 000000005704: E05D1100 800500D9
	s_add_i32 m0, m0, 0x3c0                                    // 00000000570C: 817CFF7C 000003C0
	buffer_load_dwordx4 v217, s[20:23], 0 offen offset:320 lds // 000000005714: E05D1140 800500D9
	s_add_i32 m0, m0, 0x3c0                                    // 00000000571C: 817CFF7C 000003C0
	buffer_load_dwordx4 v217, s[20:23], 0 offen offset:384 lds // 000000005724: E05D1180 800500D9
	s_add_i32 m0, m0, 0x3c0                                    // 00000000572C: 817CFF7C 000003C0
	buffer_load_dwordx4 v217, s[20:23], 0 offen offset:448 lds // 000000005734: E05D11C0 800500D9
	s_add_i32 m0, m0, 0x3c0                                    // 00000000573C: 817CFF7C 000003C0
	buffer_load_dwordx4 v217, s[20:23], 0 offen offset:512 lds // 000000005744: E05D1200 800500D9
	s_add_i32 m0, m0, 0x3c0                                    // 00000000574C: 817CFF7C 000003C0
	buffer_load_dword v33, v34, s[24:27], 0 offen              // 000000005754: E0501000 80062122
	v_add_u32_e32 v34, s73, v34                                // 00000000575C: 68444449
	v_mov_b32_e32 v213, 0xff800000                             // 000000005760: 7FAA02FF FF800000
	ds_write_b32 v41, v213                                     // 000000005768: D81A0000 0000D529
	s_waitcnt lgkmcnt(0)                                       // 000000005770: BF8CC07F
	s_barrier                                                  // 000000005774: BF8A0000
	ds_read_b32 v35, v40                                       // 000000005778: D86C0000 23000028
	ds_read_b32 v36, v40 offset:256                            // 000000005780: D86C0100 24000028
	s_waitcnt lgkmcnt(0)                                       // 000000005788: BF8CC07F
	s_barrier                                                  // 00000000578C: BF8A0000
	s_addk_i32 s70, 0x1                                        // 000000005790: B7460001
	s_cmp_lt_i32 s70, s71                                      // 000000005794: BF044746
	s_cbranch_scc0 label_3190                                  // 000000005798: BF84FF7D
	v_mul_u32_u24_e64 v217, v32, s68                           // 00000000579C: D10800D9 00008920
	v_add_u32_e32 v217, v217, v1                               // 0000000057A4: 69B203D9
	s_waitcnt vmcnt(10)                                        // 0000000057A8: BF8C0F7A
	s_barrier                                                  // 0000000057AC: BF8A0000
	s_mov_b32 s56, 0x1d000                                     // 0000000057B0: BEB800FF 0001D000
	s_mul_i32 s57, s7, 0x2400                                  // 0000000057B8: 9239FF07 00002400
	s_add_u32 m0, s56, s57                                     // 0000000057C0: 807C3938
	buffer_load_dwordx4 v217, s[20:23], 0 offen lds            // 0000000057C4: E05D1000 800500D9
	s_add_i32 m0, m0, 0x3c0                                    // 0000000057CC: 817CFF7C 000003C0
	buffer_load_dwordx4 v217, s[20:23], 0 offen offset:64 lds  // 0000000057D4: E05D1040 800500D9
	s_add_i32 m0, m0, 0x3c0                                    // 0000000057DC: 817CFF7C 000003C0
	buffer_load_dwordx4 v217, s[20:23], 0 offen offset:128 lds // 0000000057E4: E05D1080 800500D9
	s_add_i32 m0, m0, 0x3c0                                    // 0000000057EC: 817CFF7C 000003C0
	buffer_load_dwordx4 v217, s[20:23], 0 offen offset:192 lds // 0000000057F4: E05D10C0 800500D9
	s_add_i32 m0, m0, 0x3c0                                    // 0000000057FC: 817CFF7C 000003C0
	buffer_load_dwordx4 v217, s[20:23], 0 offen offset:256 lds // 000000005804: E05D1100 800500D9
	s_add_i32 m0, m0, 0x3c0                                    // 00000000580C: 817CFF7C 000003C0
	buffer_load_dwordx4 v217, s[20:23], 0 offen offset:320 lds // 000000005814: E05D1140 800500D9
	s_add_i32 m0, m0, 0x3c0                                    // 00000000581C: 817CFF7C 000003C0
	buffer_load_dwordx4 v217, s[20:23], 0 offen offset:384 lds // 000000005824: E05D1180 800500D9
	s_add_i32 m0, m0, 0x3c0                                    // 00000000582C: 817CFF7C 000003C0
	buffer_load_dwordx4 v217, s[20:23], 0 offen offset:448 lds // 000000005834: E05D11C0 800500D9
	s_add_i32 m0, m0, 0x3c0                                    // 00000000583C: 817CFF7C 000003C0
	buffer_load_dwordx4 v217, s[20:23], 0 offen offset:512 lds // 000000005844: E05D1200 800500D9
	s_add_i32 m0, m0, 0x3c0                                    // 00000000584C: 817CFF7C 000003C0
	buffer_load_dword v30, v34, s[24:27], 0 offen              // 000000005854: E0501000 80061E22
	v_add_u32_e32 v34, s73, v34                                // 00000000585C: 68444449
	v_mov_b32_e32 v213, 0xff800000                             // 000000005860: 7FAA02FF FF800000
	ds_write_b32 v41, v213                                     // 000000005868: D81A0000 0000D529
	s_waitcnt lgkmcnt(0)                                       // 000000005870: BF8CC07F
	s_barrier                                                  // 000000005874: BF8A0000
	ds_read_b32 v35, v40                                       // 000000005878: D86C0000 23000028
	ds_read_b32 v36, v40 offset:256                            // 000000005880: D86C0100 24000028
	s_waitcnt lgkmcnt(0)                                       // 000000005888: BF8CC07F
	s_barrier                                                  // 00000000588C: BF8A0000
	s_addk_i32 s70, 0x1                                        // 000000005890: B7460001
	s_cmp_lt_i32 s70, s71                                      // 000000005894: BF044746
	s_cbranch_scc0 label_3190                                  // 000000005898: BF84FF3D
	v_mul_u32_u24_e64 v217, v33, s68                           // 00000000589C: D10800D9 00008921
	v_add_u32_e32 v217, v217, v1                               // 0000000058A4: 69B203D9
	s_waitcnt vmcnt(10)                                        // 0000000058A8: BF8C0F7A
	s_barrier                                                  // 0000000058AC: BF8A0000
	s_mov_b32 s56, 0x2000                                      // 0000000058B0: BEB800FF 00002000
	s_mul_i32 s57, s7, 0x2400                                  // 0000000058B8: 9239FF07 00002400
	s_add_u32 m0, s56, s57                                     // 0000000058C0: 807C3938
	buffer_load_dwordx4 v217, s[20:23], 0 offen lds            // 0000000058C4: E05D1000 800500D9
	s_add_i32 m0, m0, 0x3c0                                    // 0000000058CC: 817CFF7C 000003C0
	buffer_load_dwordx4 v217, s[20:23], 0 offen offset:64 lds  // 0000000058D4: E05D1040 800500D9
	s_add_i32 m0, m0, 0x3c0                                    // 0000000058DC: 817CFF7C 000003C0
	buffer_load_dwordx4 v217, s[20:23], 0 offen offset:128 lds // 0000000058E4: E05D1080 800500D9
	s_add_i32 m0, m0, 0x3c0                                    // 0000000058EC: 817CFF7C 000003C0
	buffer_load_dwordx4 v217, s[20:23], 0 offen offset:192 lds // 0000000058F4: E05D10C0 800500D9
	s_add_i32 m0, m0, 0x3c0                                    // 0000000058FC: 817CFF7C 000003C0
	buffer_load_dwordx4 v217, s[20:23], 0 offen offset:256 lds // 000000005904: E05D1100 800500D9
	s_add_i32 m0, m0, 0x3c0                                    // 00000000590C: 817CFF7C 000003C0
	buffer_load_dwordx4 v217, s[20:23], 0 offen offset:320 lds // 000000005914: E05D1140 800500D9
	s_add_i32 m0, m0, 0x3c0                                    // 00000000591C: 817CFF7C 000003C0
	buffer_load_dwordx4 v217, s[20:23], 0 offen offset:384 lds // 000000005924: E05D1180 800500D9
	s_add_i32 m0, m0, 0x3c0                                    // 00000000592C: 817CFF7C 000003C0
	buffer_load_dwordx4 v217, s[20:23], 0 offen offset:448 lds // 000000005934: E05D11C0 800500D9
	s_add_i32 m0, m0, 0x3c0                                    // 00000000593C: 817CFF7C 000003C0
	buffer_load_dwordx4 v217, s[20:23], 0 offen offset:512 lds // 000000005944: E05D1200 800500D9
	s_add_i32 m0, m0, 0x3c0                                    // 00000000594C: 817CFF7C 000003C0
	buffer_load_dword v31, v34, s[24:27], 0 offen              // 000000005954: E0501000 80061F22
	v_add_u32_e32 v34, s73, v34                                // 00000000595C: 68444449
	v_mov_b32_e32 v213, 0xff800000                             // 000000005960: 7FAA02FF FF800000
	ds_write_b32 v41, v213                                     // 000000005968: D81A0000 0000D529
	s_waitcnt lgkmcnt(0)                                       // 000000005970: BF8CC07F
	s_barrier                                                  // 000000005974: BF8A0000
	ds_read_b32 v35, v40                                       // 000000005978: D86C0000 23000028
	ds_read_b32 v36, v40 offset:256                            // 000000005980: D86C0100 24000028
	s_waitcnt lgkmcnt(0)                                       // 000000005988: BF8CC07F
	s_barrier                                                  // 00000000598C: BF8A0000
	s_addk_i32 s70, 0x1                                        // 000000005990: B7460001
	s_cmp_lt_i32 s70, s71                                      // 000000005994: BF044746
	s_cbranch_scc0 label_3190                                  // 000000005998: BF84FEFD
	s_branch label_319C                                        // 00000000599C: BF82FEFF

00000000000059a0 <label_35A0>:
	ds_read_b64_tr_b8 a[72:73], v9                             // 0000000059A0: DBC40000 48000009
	ds_read_b64_tr_b8 a[74:75], v10                            // 0000000059A8: DBC40000 4A00000A
	ds_read_b64_tr_b8 a[76:77], v9 offset:18432                // 0000000059B0: DBC44800 4C000009
	ds_read_b64_tr_b8 a[78:79], v10 offset:18432               // 0000000059B8: DBC44800 4E00000A
	ds_read_b64_tr_b8 a[80:81], v11                            // 0000000059C0: DBC40000 5000000B
	ds_read_b64_tr_b8 a[82:83], v12                            // 0000000059C8: DBC40000 5200000C
	ds_read_b64_tr_b8 a[84:85], v11 offset:18432               // 0000000059D0: DBC44800 5400000B
	ds_read_b64_tr_b8 a[86:87], v12 offset:18432               // 0000000059D8: DBC44800 5600000C
	ds_read_b64_tr_b8 a[88:89], v9 offset:1024                 // 0000000059E0: DBC40400 58000009
	ds_read_b64_tr_b8 a[90:91], v10 offset:1024                // 0000000059E8: DBC40400 5A00000A
	ds_read_b64_tr_b8 a[92:93], v9 offset:19456                // 0000000059F0: DBC44C00 5C000009
	ds_read_b64_tr_b8 a[94:95], v10 offset:19456               // 0000000059F8: DBC44C00 5E00000A
	ds_read_b64_tr_b8 a[96:97], v11 offset:1024                // 000000005A00: DBC40400 6000000B
	ds_read_b64_tr_b8 a[98:99], v12 offset:1024                // 000000005A08: DBC40400 6200000C
	ds_read_b64_tr_b8 a[100:101], v11 offset:19456             // 000000005A10: DBC44C00 6400000B
	ds_read_b64_tr_b8 a[102:103], v12 offset:19456             // 000000005A18: DBC44C00 6600000C
	ds_read_b64_tr_b8 a[104:105], v9 offset:2048               // 000000005A20: DBC40800 68000009
	ds_read_b64_tr_b8 a[106:107], v10 offset:2048              // 000000005A28: DBC40800 6A00000A
	ds_read_b64_tr_b8 a[108:109], v9 offset:20480              // 000000005A30: DBC45000 6C000009
	ds_read_b64_tr_b8 a[110:111], v10 offset:20480             // 000000005A38: DBC45000 6E00000A
	ds_read_b64_tr_b8 a[112:113], v11 offset:2048              // 000000005A40: DBC40800 7000000B
	ds_read_b64_tr_b8 a[114:115], v12 offset:2048              // 000000005A48: DBC40800 7200000C
	ds_read_b64_tr_b8 a[116:117], v11 offset:20480             // 000000005A50: DBC45000 7400000B
	ds_read_b64_tr_b8 a[118:119], v12 offset:20480             // 000000005A58: DBC45000 7600000C
	ds_read_b64_tr_b8 a[120:121], v9 offset:3072               // 000000005A60: DBC40C00 78000009
	ds_read_b64_tr_b8 a[122:123], v10 offset:3072              // 000000005A68: DBC40C00 7A00000A
	ds_read_b64_tr_b8 a[124:125], v9 offset:21504              // 000000005A70: DBC45400 7C000009
	ds_read_b64_tr_b8 a[126:127], v10 offset:21504             // 000000005A78: DBC45400 7E00000A
	ds_read_b64_tr_b8 a[128:129], v11 offset:3072              // 000000005A80: DBC40C00 8000000B
	ds_read_b64_tr_b8 a[130:131], v12 offset:3072              // 000000005A88: DBC40C00 8200000C
	ds_read_b64_tr_b8 a[132:133], v11 offset:21504             // 000000005A90: DBC45400 8400000B
	ds_read_b64_tr_b8 a[134:135], v12 offset:21504             // 000000005A98: DBC45400 8600000C
	s_waitcnt lgkmcnt(4)                                       // 000000005AA0: BF8CC47F
	v_mfma_f32_32x32x64_f8f6f4 v[76:91], a[72:79], v[44:51], v[76:91]// 000000005AA4: D3AE004C 0D325948
	ds_read_b128 a[72:75], v26                                 // 000000005AAC: DBFE0000 4800001A
	ds_read_b128 a[76:79], v27                                 // 000000005AB4: DBFE0000 4C00001B
	v_mfma_f32_32x32x64_f8f6f4 v[92:107], a[80:87], v[44:51], v[92:107]// 000000005ABC: D3AE005C 0D725950
	ds_read_b128 a[80:83], v26 offset:1024                     // 000000005AC4: DBFE0400 5000001A
	ds_read_b128 a[84:87], v27 offset:1024                     // 000000005ACC: DBFE0400 5400001B
	v_mfma_f32_32x32x64_f8f6f4 v[108:123], a[88:95], v[44:51], v[108:123]// 000000005AD4: D3AE006C 0DB25958
	ds_read_b128 a[88:91], v26 offset:2048                     // 000000005ADC: DBFE0800 5800001A
	ds_read_b128 a[92:95], v27 offset:2048                     // 000000005AE4: DBFE0800 5C00001B
	v_mfma_f32_32x32x64_f8f6f4 v[124:139], a[96:103], v[44:51], v[124:139]// 000000005AEC: D3AE007C 0DF25960
	ds_read_b128 a[96:99], v26 offset:3072                     // 000000005AF4: DBFE0C00 6000001A
	ds_read_b128 a[100:103], v27 offset:3072                   // 000000005AFC: DBFE0C00 6400001B
	v_mfma_f32_32x32x64_f8f6f4 v[140:155], a[104:111], v[44:51], v[140:155]// 000000005B04: D3AE008C 0E325968
	ds_read_b128 a[104:107], v26 offset:4096                   // 000000005B0C: DBFE1000 6800001A
	ds_read_b128 a[108:111], v27 offset:4096                   // 000000005B14: DBFE1000 6C00001B
	v_mfma_f32_32x32x64_f8f6f4 v[156:171], a[112:119], v[44:51], v[156:171]// 000000005B1C: D3AE009C 0E725970
	ds_read_b128 a[112:115], v26 offset:5120                   // 000000005B24: DBFE1400 7000001A
	ds_read_b128 a[116:119], v27 offset:5120                   // 000000005B2C: DBFE1400 7400001B
	v_mfma_f32_32x32x64_f8f6f4 v[172:187], a[120:127], v[44:51], v[172:187]// 000000005B34: D3AE00AC 0EB25978
	ds_read_b128 a[120:123], v26 offset:6144                   // 000000005B3C: DBFE1800 7800001A
	ds_read_b128 a[124:127], v27 offset:6144                   // 000000005B44: DBFE1800 7C00001B
	v_mfma_f32_32x32x64_f8f6f4 v[188:203], a[128:135], v[44:51], v[188:203]// 000000005B4C: D3AE00BC 0EF25980
	ds_read_b128 a[128:131], v26 offset:7168                   // 000000005B54: DBFE1C00 8000001A
	ds_read_b128 a[132:135], v27 offset:7168                   // 000000005B5C: DBFE1C00 8400001B
	ds_read_b128 a[136:139], v26 offset:8192                   // 000000005B64: DBFE2000 8800001A
	ds_read_b128 a[140:143], v27 offset:8192                   // 000000005B6C: DBFE2000 8C00001B
	s_branch label_5CDC                                        // 000000005B74: BF820959

0000000000005b78 <label_3778>:
	s_and_b32 s56, 3, s71                                      // 000000005B78: 86384783
	s_cmp_eq_i32 s56, 1                                        // 000000005B7C: BF008138
	s_cbranch_scc1 label_379C                                  // 000000005B80: BF850006
	s_cmp_eq_i32 s56, 2                                        // 000000005B84: BF008238
	s_cbranch_scc1 label_40EC                                  // 000000005B88: BF850258
	s_cmp_eq_i32 s56, 3                                        // 000000005B8C: BF008338
	s_cbranch_scc1 label_4A3C                                  // 000000005B90: BF8504AA
	s_cmp_eq_i32 s56, 0                                        // 000000005B94: BF008038
	s_cbranch_scc1 label_538C                                  // 000000005B98: BF8506FC

0000000000005b9c <label_379C>:
	s_mov_b32 s56, 64                                          // 000000005B9C: BEB800C0
	s_mul_i32 s83, s56, s71                                    // 000000005BA0: 92534738
	s_cmp_le_i32 s83, s82                                      // 000000005BA4: BF055253
	s_cbranch_scc1 label_3978                                  // 000000005BA8: BF850073
	v_and_b32_e32 v35, 31, v0                                  // 000000005BAC: 2646009F
	v_lshrrev_b32_e32 v35, 3, v35                              // 000000005BB0: 20464683
	v_add_u32_e32 v35, s82, v35                                // 000000005BB4: 68464652
	s_and_b32 s56, 2, s7                                       // 000000005BB8: 86380782
	s_lshl_b32 s56, s56, 1                                     // 000000005BBC: 8E388138
	v_add_u32_e32 v35, s56, v35                                // 000000005BC0: 68464638
	s_sub_u32 s56, s83, 64                                     // 000000005BC4: 80B8C053
	v_lshrrev_b32_e32 v204, 5, v0                              // 000000005BC8: 21980085
	v_mul_i32_i24_e32 v204, 4, v204                            // 000000005BCC: 0D999884
	v_add_u32_e32 v204, s56, v204                              // 000000005BD0: 69999838
	s_and_b32 s56, s7, 1                                       // 000000005BD4: 86388107
	s_mov_b32 s57, 32                                          // 000000005BD8: BEB900A0
	s_mul_i32 s56, s57, s56                                    // 000000005BDC: 92383839
	v_add_u32_e32 v204, s56, v204                              // 000000005BE0: 69999838
	v_add_u32_e32 v205, 1, v204                                // 000000005BE4: 699B9881
	v_add_u32_e32 v206, 2, v204                                // 000000005BE8: 699D9882
	v_add_u32_e32 v207, 3, v204                                // 000000005BEC: 699F9883
	v_mov_b32_e32 v37, 0xff800000                              // 000000005BF0: 7E4A02FF FF800000
	v_cmp_le_i32_e64 s[36:37], v204, v35                       // 000000005BF8: D0C30024 000247CC
	s_nop 0                                                    // 000000005C00: BF800000
	v_cndmask_b32_e64 v44, v37, v44, s[36:37]                  // 000000005C04: D100002C 00925925
	v_add_u32_e32 v204, 8, v204                                // 000000005C0C: 69999888
	v_cmp_le_i32_e64 s[36:37], v205, v35                       // 000000005C10: D0C30024 000247CD
	s_nop 0                                                    // 000000005C18: BF800000
	v_cndmask_b32_e64 v45, v37, v45, s[36:37]                  // 000000005C1C: D100002D 00925B25
	v_add_u32_e32 v205, 8, v205                                // 000000005C24: 699B9A88
	v_cmp_le_i32_e64 s[36:37], v206, v35                       // 000000005C28: D0C30024 000247CE
	s_nop 0                                                    // 000000005C30: BF800000
	v_cndmask_b32_e64 v46, v37, v46, s[36:37]                  // 000000005C34: D100002E 00925D25
	v_add_u32_e32 v206, 8, v206                                // 000000005C3C: 699D9C88
	v_cmp_le_i32_e64 s[36:37], v207, v35                       // 000000005C40: D0C30024 000247CF
	s_nop 0                                                    // 000000005C48: BF800000
	v_cndmask_b32_e64 v47, v37, v47, s[36:37]                  // 000000005C4C: D100002F 00925F25
	v_add_u32_e32 v207, 8, v207                                // 000000005C54: 699F9E88
	v_cmp_le_i32_e64 s[36:37], v204, v35                       // 000000005C58: D0C30024 000247CC
	s_nop 0                                                    // 000000005C60: BF800000
	v_cndmask_b32_e64 v48, v37, v48, s[36:37]                  // 000000005C64: D1000030 00926125
	v_add_u32_e32 v204, 8, v204                                // 000000005C6C: 69999888
	v_cmp_le_i32_e64 s[36:37], v205, v35                       // 000000005C70: D0C30024 000247CD
	s_nop 0                                                    // 000000005C78: BF800000
	v_cndmask_b32_e64 v49, v37, v49, s[36:37]                  // 000000005C7C: D1000031 00926325
	v_add_u32_e32 v205, 8, v205                                // 000000005C84: 699B9A88
	v_cmp_le_i32_e64 s[36:37], v206, v35                       // 000000005C88: D0C30024 000247CE
	s_nop 0                                                    // 000000005C90: BF800000
	v_cndmask_b32_e64 v50, v37, v50, s[36:37]                  // 000000005C94: D1000032 00926525
	v_add_u32_e32 v206, 8, v206                                // 000000005C9C: 699D9C88
	v_cmp_le_i32_e64 s[36:37], v207, v35                       // 000000005CA0: D0C30024 000247CF
	s_nop 0                                                    // 000000005CA8: BF800000
	v_cndmask_b32_e64 v51, v37, v51, s[36:37]                  // 000000005CAC: D1000033 00926725
	v_add_u32_e32 v207, 8, v207                                // 000000005CB4: 699F9E88
	v_cmp_le_i32_e64 s[36:37], v204, v35                       // 000000005CB8: D0C30024 000247CC
	s_nop 0                                                    // 000000005CC0: BF800000
	v_cndmask_b32_e64 v52, v37, v52, s[36:37]                  // 000000005CC4: D1000034 00926925
	v_add_u32_e32 v204, 8, v204                                // 000000005CCC: 69999888
	v_cmp_le_i32_e64 s[36:37], v205, v35                       // 000000005CD0: D0C30024 000247CD
	s_nop 0                                                    // 000000005CD8: BF800000
	v_cndmask_b32_e64 v53, v37, v53, s[36:37]                  // 000000005CDC: D1000035 00926B25
	v_add_u32_e32 v205, 8, v205                                // 000000005CE4: 699B9A88
	v_cmp_le_i32_e64 s[36:37], v206, v35                       // 000000005CE8: D0C30024 000247CE
	s_nop 0                                                    // 000000005CF0: BF800000
	v_cndmask_b32_e64 v54, v37, v54, s[36:37]                  // 000000005CF4: D1000036 00926D25
	v_add_u32_e32 v206, 8, v206                                // 000000005CFC: 699D9C88
	v_cmp_le_i32_e64 s[36:37], v207, v35                       // 000000005D00: D0C30024 000247CF
	s_nop 0                                                    // 000000005D08: BF800000
	v_cndmask_b32_e64 v55, v37, v55, s[36:37]                  // 000000005D0C: D1000037 00926F25
	v_add_u32_e32 v207, 8, v207                                // 000000005D14: 699F9E88
	v_cmp_le_i32_e64 s[36:37], v204, v35                       // 000000005D18: D0C30024 000247CC
	s_nop 0                                                    // 000000005D20: BF800000
	v_cndmask_b32_e64 v56, v37, v56, s[36:37]                  // 000000005D24: D1000038 00927125
	v_add_u32_e32 v204, 8, v204                                // 000000005D2C: 69999888
	v_cmp_le_i32_e64 s[36:37], v205, v35                       // 000000005D30: D0C30024 000247CD
	s_nop 0                                                    // 000000005D38: BF800000
	v_cndmask_b32_e64 v57, v37, v57, s[36:37]                  // 000000005D3C: D1000039 00927325
	v_add_u32_e32 v205, 8, v205                                // 000000005D44: 699B9A88
	v_cmp_le_i32_e64 s[36:37], v206, v35                       // 000000005D48: D0C30024 000247CE
	s_nop 0                                                    // 000000005D50: BF800000
	v_cndmask_b32_e64 v58, v37, v58, s[36:37]                  // 000000005D54: D100003A 00927525
	v_add_u32_e32 v206, 8, v206                                // 000000005D5C: 699D9C88
	v_cmp_le_i32_e64 s[36:37], v207, v35                       // 000000005D60: D0C30024 000247CF
	s_nop 0                                                    // 000000005D68: BF800000
	v_cndmask_b32_e64 v59, v37, v59, s[36:37]                  // 000000005D6C: D100003B 00927725
	v_add_u32_e32 v207, 8, v207                                // 000000005D74: 699F9E88

0000000000005d78 <label_3978>:
	s_add_u32 s83, s84, s83                                    // 000000005D78: 80535354
	s_nop 2                                                    // 000000005D7C: BF800002
	v_mov_b32_e32 v213, v44                                    // 000000005D80: 7FAA032C
	v_max3_f32 v213, v44, v45, v213                            // 000000005D84: D1D300D5 07565B2C
	v_max3_f32 v213, v46, v47, v213                            // 000000005D8C: D1D300D5 07565F2E
	v_max3_f32 v213, v48, v49, v213                            // 000000005D94: D1D300D5 07566330
	v_max3_f32 v213, v50, v51, v213                            // 000000005D9C: D1D300D5 07566732
	v_max3_f32 v213, v52, v53, v213                            // 000000005DA4: D1D300D5 07566B34
	v_max3_f32 v213, v54, v55, v213                            // 000000005DAC: D1D300D5 07566F36
	v_max3_f32 v213, v56, v57, v213                            // 000000005DB4: D1D300D5 07567338
	v_max3_f32 v213, v58, v59, v213                            // 000000005DBC: D1D300D5 0756773A
	v_mov_b32_e32 v35, v213                                    // 000000005DC4: 7E4603D5
	v_mov_b32_e32 v36, v213                                    // 000000005DC8: 7E4803D5
	s_nop 1                                                    // 000000005DCC: BF800001
	v_permlane32_swap_b32_e32 v35, v36                         // 000000005DD0: 7E46B524
	v_max3_f32 v213, v35, v36, v213                            // 000000005DD4: D1D300D5 07564923
	ds_write_b32 v41, v213                                     // 000000005DDC: D81A0000 0000D529
	s_waitcnt lgkmcnt(0)                                       // 000000005DE4: BF8CC07F
	s_barrier                                                  // 000000005DE8: BF8A0000
	ds_read_b32 v35, v40                                       // 000000005DEC: D86C0000 23000028
	ds_read_b32 v36, v40 offset:256                            // 000000005DF4: D86C0100 24000028
	s_waitcnt lgkmcnt(0)                                       // 000000005DFC: BF8CC07F
	v_max3_f32 v213, v35, v36, v213                            // 000000005E00: D1D300D5 07564923
	v_mov_b32_e32 v35, 0xff800000                              // 000000005E08: 7E4602FF FF800000
	v_cmp_eq_u32_e64 s[36:37], v35, v2                         // 000000005E10: D0CA0024 00020523
	v_max_f32_e32 v216, v213, v2                               // 000000005E18: 17B005D5
	v_sub_f32_e32 v21, v2, v216                                // 000000005E1C: 042BB102
	v_cndmask_b32_e64 v21, v21, 0, s[36:37]                    // 000000005E20: D1000015 00910115
	v_mov_b32_e32 v2, v216                                     // 000000005E28: 7E0403D8
	v_mul_f32_e32 v212, s5, v216                               // 000000005E2C: 0BA9B005
	v_mul_f32_e32 v21, s5, v21                                 // 000000005E30: 0A2A2A05
	v_exp_f32_e32 v21, v21                                     // 000000005E34: 7E2A4115
	v_fma_f32 v44, v44, s5, -v212                              // 000000005E38: D1CB002C 87500B2C
	v_fma_f32 v45, v45, s5, -v212                              // 000000005E40: D1CB002D 87500B2D
	v_fma_f32 v46, v46, s5, -v212                              // 000000005E48: D1CB002E 87500B2E
	v_fma_f32 v47, v47, s5, -v212                              // 000000005E50: D1CB002F 87500B2F
	v_fma_f32 v48, v48, s5, -v212                              // 000000005E58: D1CB0030 87500B30
	v_fma_f32 v49, v49, s5, -v212                              // 000000005E60: D1CB0031 87500B31
	v_fma_f32 v50, v50, s5, -v212                              // 000000005E68: D1CB0032 87500B32
	v_fma_f32 v51, v51, s5, -v212                              // 000000005E70: D1CB0033 87500B33
	v_fma_f32 v52, v52, s5, -v212                              // 000000005E78: D1CB0034 87500B34
	v_fma_f32 v53, v53, s5, -v212                              // 000000005E80: D1CB0035 87500B35
	v_fma_f32 v54, v54, s5, -v212                              // 000000005E88: D1CB0036 87500B36
	v_fma_f32 v55, v55, s5, -v212                              // 000000005E90: D1CB0037 87500B37
	v_fma_f32 v56, v56, s5, -v212                              // 000000005E98: D1CB0038 87500B38
	v_fma_f32 v57, v57, s5, -v212                              // 000000005EA0: D1CB0039 87500B39
	v_fma_f32 v58, v58, s5, -v212                              // 000000005EA8: D1CB003A 87500B3A
	v_fma_f32 v59, v59, s5, -v212                              // 000000005EB0: D1CB003B 87500B3B
	v_mov_b32_e32 v35, 0xffc00000                              // 000000005EB8: 7E4602FF FFC00000
	v_exp_f32_e32 v44, v44                                     // 000000005EC0: 7E58412C
	v_exp_f32_e32 v45, v45                                     // 000000005EC4: 7E5A412D
	v_exp_f32_e32 v46, v46                                     // 000000005EC8: 7E5C412E
	v_exp_f32_e32 v47, v47                                     // 000000005ECC: 7E5E412F
	v_exp_f32_e32 v48, v48                                     // 000000005ED0: 7E604130
	v_exp_f32_e32 v49, v49                                     // 000000005ED4: 7E624131
	v_exp_f32_e32 v50, v50                                     // 000000005ED8: 7E644132
	v_exp_f32_e32 v51, v51                                     // 000000005EDC: 7E664133
	v_exp_f32_e32 v52, v52                                     // 000000005EE0: 7E684134
	v_exp_f32_e32 v53, v53                                     // 000000005EE4: 7E6A4135
	v_exp_f32_e32 v54, v54                                     // 000000005EE8: 7E6C4136
	v_exp_f32_e32 v55, v55                                     // 000000005EEC: 7E6E4137
	v_exp_f32_e32 v56, v56                                     // 000000005EF0: 7E704138
	v_exp_f32_e32 v57, v57                                     // 000000005EF4: 7E724139
	v_exp_f32_e32 v58, v58                                     // 000000005EF8: 7E74413A
	v_exp_f32_e32 v59, v59                                     // 000000005EFC: 7E76413B
	v_mul_f32_e32 v4, v21, v4                                  // 000000005F00: 0A080915
	v_mov_b32_e32 v35, v44                                     // 000000005F04: 7E46032C
	v_add_f32_e32 v35, v45, v35                                // 000000005F08: 0246472D
	v_add_f32_e32 v35, v46, v35                                // 000000005F0C: 0246472E
	v_add_f32_e32 v35, v47, v35                                // 000000005F10: 0246472F
	v_add_f32_e32 v35, v48, v35                                // 000000005F14: 02464730
	v_add_f32_e32 v35, v49, v35                                // 000000005F18: 02464731
	v_add_f32_e32 v35, v50, v35                                // 000000005F1C: 02464732
	v_add_f32_e32 v35, v51, v35                                // 000000005F20: 02464733
	v_add_f32_e32 v35, v52, v35                                // 000000005F24: 02464734
	v_add_f32_e32 v35, v53, v35                                // 000000005F28: 02464735
	v_add_f32_e32 v35, v54, v35                                // 000000005F2C: 02464736
	v_add_f32_e32 v35, v55, v35                                // 000000005F30: 02464737
	v_add_f32_e32 v35, v56, v35                                // 000000005F34: 02464738
	v_add_f32_e32 v35, v57, v35                                // 000000005F38: 02464739
	v_add_f32_e32 v35, v58, v35                                // 000000005F3C: 0246473A
	v_add_f32_e32 v35, v59, v35                                // 000000005F40: 0246473B
	v_add_f32_e32 v4, v35, v4                                  // 000000005F44: 02080923
	v_cvt_pk_fp8_f32 v44, v44, v45                             // 000000005F48: D2A2002C 00025B2C
	v_cvt_pk_fp8_f32 v44, v46, v47 op_sel:[0,0,1]              // 000000005F50: D2A2402C 00025F2E
	v_cvt_pk_fp8_f32 v45, v48, v49                             // 000000005F58: D2A2002D 00026330
	v_cvt_pk_fp8_f32 v45, v50, v51 op_sel:[0,0,1]              // 000000005F60: D2A2402D 00026732
	v_cvt_pk_fp8_f32 v46, v52, v53                             // 000000005F68: D2A2002E 00026B34
	v_cvt_pk_fp8_f32 v46, v54, v55 op_sel:[0,0,1]              // 000000005F70: D2A2402E 00026F36
	v_cvt_pk_fp8_f32 v47, v56, v57                             // 000000005F78: D2A2002F 00027338
	v_cvt_pk_fp8_f32 v47, v58, v59 op_sel:[0,0,1]              // 000000005F80: D2A2402F 0002773A
	ds_write_b128 v43, v[44:47] offset:1024                    // 000000005F88: D9BE0400 00002C2B
	s_waitcnt lgkmcnt(0)                                       // 000000005F90: BF8CC07F
	s_barrier                                                  // 000000005F94: BF8A0000
	ds_read_b128 v[44:47], v42 offset:1024                     // 000000005F98: D9FE0400 2C00002A
	ds_read_b128 v[48:51], v42 offset:2048                     // 000000005FA0: D9FE0800 3000002A
	s_waitcnt lgkmcnt(0)                                       // 000000005FA8: BF8CC07F
	v_permlane32_swap_b32_e32 v44, v46                         // 000000005FAC: 7E58B52E
	v_permlane32_swap_b32_e32 v45, v47                         // 000000005FB0: 7E5AB52F
	v_swap_b32 v45, v46                                        // 000000005FB4: 7E5AA32E
	v_permlane32_swap_b32_e32 v48, v50                         // 000000005FB8: 7E60B532
	v_permlane32_swap_b32_e32 v49, v51                         // 000000005FBC: 7E62B533
	v_swap_b32 v49, v50                                        // 000000005FC0: 7E62A332
	ds_read_b64_tr_b8 a[72:73], v5                             // 000000005FC4: DBC40000 48000005
	ds_read_b64_tr_b8 a[74:75], v6                             // 000000005FCC: DBC40000 4A000006
	ds_read_b64_tr_b8 a[76:77], v5 offset:18432                // 000000005FD4: DBC44800 4C000005
	ds_read_b64_tr_b8 a[78:79], v6 offset:18432                // 000000005FDC: DBC44800 4E000006
	ds_read_b64_tr_b8 a[80:81], v7                             // 000000005FE4: DBC40000 50000007
	ds_read_b64_tr_b8 a[82:83], v8                             // 000000005FEC: DBC40000 52000008
	ds_read_b64_tr_b8 a[84:85], v7 offset:18432                // 000000005FF4: DBC44800 54000007
	ds_read_b64_tr_b8 a[86:87], v8 offset:18432                // 000000005FFC: DBC44800 56000008
	ds_read_b64_tr_b8 a[88:89], v5 offset:1024                 // 000000006004: DBC40400 58000005
	ds_read_b64_tr_b8 a[90:91], v6 offset:1024                 // 00000000600C: DBC40400 5A000006
	ds_read_b64_tr_b8 a[92:93], v5 offset:19456                // 000000006014: DBC44C00 5C000005
	ds_read_b64_tr_b8 a[94:95], v6 offset:19456                // 00000000601C: DBC44C00 5E000006
	ds_read_b64_tr_b8 a[96:97], v7 offset:1024                 // 000000006024: DBC40400 60000007
	ds_read_b64_tr_b8 a[98:99], v8 offset:1024                 // 00000000602C: DBC40400 62000008
	ds_read_b64_tr_b8 a[100:101], v7 offset:19456              // 000000006034: DBC44C00 64000007
	ds_read_b64_tr_b8 a[102:103], v8 offset:19456              // 00000000603C: DBC44C00 66000008
	ds_read_b64_tr_b8 a[104:105], v5 offset:2048               // 000000006044: DBC40800 68000005
	ds_read_b64_tr_b8 a[106:107], v6 offset:2048               // 00000000604C: DBC40800 6A000006
	ds_read_b64_tr_b8 a[108:109], v5 offset:20480              // 000000006054: DBC45000 6C000005
	ds_read_b64_tr_b8 a[110:111], v6 offset:20480              // 00000000605C: DBC45000 6E000006
	ds_read_b64_tr_b8 a[112:113], v7 offset:2048               // 000000006064: DBC40800 70000007
	ds_read_b64_tr_b8 a[114:115], v8 offset:2048               // 00000000606C: DBC40800 72000008
	ds_read_b64_tr_b8 a[116:117], v7 offset:20480              // 000000006074: DBC45000 74000007
	ds_read_b64_tr_b8 a[118:119], v8 offset:20480              // 00000000607C: DBC45000 76000008
	ds_read_b64_tr_b8 a[120:121], v5 offset:3072               // 000000006084: DBC40C00 78000005
	ds_read_b64_tr_b8 a[122:123], v6 offset:3072               // 00000000608C: DBC40C00 7A000006
	ds_read_b64_tr_b8 a[124:125], v5 offset:21504              // 000000006094: DBC45400 7C000005
	ds_read_b64_tr_b8 a[126:127], v6 offset:21504              // 00000000609C: DBC45400 7E000006
	ds_read_b64_tr_b8 a[128:129], v7 offset:3072               // 0000000060A4: DBC40C00 80000007
	ds_read_b64_tr_b8 a[130:131], v8 offset:3072               // 0000000060AC: DBC40C00 82000008
	ds_read_b64_tr_b8 a[132:133], v7 offset:21504              // 0000000060B4: DBC45400 84000007
	ds_read_b64_tr_b8 a[134:135], v8 offset:21504              // 0000000060BC: DBC45400 86000008
	s_waitcnt lgkmcnt(4)                                       // 0000000060C4: BF8CC47F
	v_mfma_f32_32x32x64_f8f6f4 v[76:91], a[72:79], v[60:67], v[76:91]// 0000000060C8: D3AE004C 0D327948
	ds_read_b64_tr_b8 a[72:73], v9                             // 0000000060D0: DBC40000 48000009
	ds_read_b64_tr_b8 a[74:75], v10                            // 0000000060D8: DBC40000 4A00000A
	ds_read_b64_tr_b8 a[76:77], v9 offset:18432                // 0000000060E0: DBC44800 4C000009
	ds_read_b64_tr_b8 a[78:79], v10 offset:18432               // 0000000060E8: DBC44800 4E00000A
	v_mfma_f32_32x32x64_f8f6f4 v[92:107], a[80:87], v[60:67], v[92:107]// 0000000060F0: D3AE005C 0D727950
	ds_read_b64_tr_b8 a[80:81], v11                            // 0000000060F8: DBC40000 5000000B
	ds_read_b64_tr_b8 a[82:83], v12                            // 000000006100: DBC40000 5200000C
	ds_read_b64_tr_b8 a[84:85], v11 offset:18432               // 000000006108: DBC44800 5400000B
	ds_read_b64_tr_b8 a[86:87], v12 offset:18432               // 000000006110: DBC44800 5600000C
	v_mfma_f32_32x32x64_f8f6f4 v[108:123], a[88:95], v[60:67], v[108:123]// 000000006118: D3AE006C 0DB27958
	ds_read_b64_tr_b8 a[88:89], v9 offset:1024                 // 000000006120: DBC40400 58000009
	ds_read_b64_tr_b8 a[90:91], v10 offset:1024                // 000000006128: DBC40400 5A00000A
	ds_read_b64_tr_b8 a[92:93], v9 offset:19456                // 000000006130: DBC44C00 5C000009
	ds_read_b64_tr_b8 a[94:95], v10 offset:19456               // 000000006138: DBC44C00 5E00000A
	v_mfma_f32_32x32x64_f8f6f4 v[124:139], a[96:103], v[60:67], v[124:139]// 000000006140: D3AE007C 0DF27960
	ds_read_b64_tr_b8 a[96:97], v11 offset:1024                // 000000006148: DBC40400 6000000B
	ds_read_b64_tr_b8 a[98:99], v12 offset:1024                // 000000006150: DBC40400 6200000C
	ds_read_b64_tr_b8 a[100:101], v11 offset:19456             // 000000006158: DBC44C00 6400000B
	ds_read_b64_tr_b8 a[102:103], v12 offset:19456             // 000000006160: DBC44C00 6600000C
	v_mfma_f32_32x32x64_f8f6f4 v[140:155], a[104:111], v[60:67], v[140:155]// 000000006168: D3AE008C 0E327968
	ds_read_b64_tr_b8 a[104:105], v9 offset:2048               // 000000006170: DBC40800 68000009
	ds_read_b64_tr_b8 a[106:107], v10 offset:2048              // 000000006178: DBC40800 6A00000A
	ds_read_b64_tr_b8 a[108:109], v9 offset:20480              // 000000006180: DBC45000 6C000009
	ds_read_b64_tr_b8 a[110:111], v10 offset:20480             // 000000006188: DBC45000 6E00000A
	v_mfma_f32_32x32x64_f8f6f4 v[156:171], a[112:119], v[60:67], v[156:171]// 000000006190: D3AE009C 0E727970
	ds_read_b64_tr_b8 a[112:113], v11 offset:2048              // 000000006198: DBC40800 7000000B
	ds_read_b64_tr_b8 a[114:115], v12 offset:2048              // 0000000061A0: DBC40800 7200000C
	ds_read_b64_tr_b8 a[116:117], v11 offset:20480             // 0000000061A8: DBC45000 7400000B
	ds_read_b64_tr_b8 a[118:119], v12 offset:20480             // 0000000061B0: DBC45000 7600000C
	v_mfma_f32_32x32x64_f8f6f4 v[172:187], a[120:127], v[60:67], v[172:187]// 0000000061B8: D3AE00AC 0EB27978
	ds_read_b64_tr_b8 a[120:121], v9 offset:3072               // 0000000061C0: DBC40C00 78000009
	ds_read_b64_tr_b8 a[122:123], v10 offset:3072              // 0000000061C8: DBC40C00 7A00000A
	ds_read_b64_tr_b8 a[124:125], v9 offset:21504              // 0000000061D0: DBC45400 7C000009
	ds_read_b64_tr_b8 a[126:127], v10 offset:21504             // 0000000061D8: DBC45400 7E00000A
	v_mfma_f32_32x32x64_f8f6f4 v[188:203], a[128:135], v[60:67], v[188:203]// 0000000061E0: D3AE00BC 0EF27980
	ds_read_b64_tr_b8 a[128:129], v11 offset:3072              // 0000000061E8: DBC40C00 8000000B
	ds_read_b64_tr_b8 a[130:131], v12 offset:3072              // 0000000061F0: DBC40C00 8200000C
	ds_read_b64_tr_b8 a[132:133], v11 offset:21504             // 0000000061F8: DBC45400 8400000B
	ds_read_b64_tr_b8 a[134:135], v12 offset:21504             // 000000006200: DBC45400 8600000C
	v_mov_b32_e32 v36, v21                                     // 000000006208: 7E480315
	v_mov_b32_e32 v37, v21                                     // 00000000620C: 7E4A0315
	v_pk_mul_f32 v[76:77], v[36:37], v[76:77]                  // 000000006210: D3B1404C 18029924
	v_pk_mul_f32 v[78:79], v[36:37], v[78:79]                  // 000000006218: D3B1404E 18029D24
	v_pk_mul_f32 v[80:81], v[36:37], v[80:81]                  // 000000006220: D3B14050 1802A124
	v_pk_mul_f32 v[82:83], v[36:37], v[82:83]                  // 000000006228: D3B14052 1802A524
	v_pk_mul_f32 v[84:85], v[36:37], v[84:85]                  // 000000006230: D3B14054 1802A924
	v_pk_mul_f32 v[86:87], v[36:37], v[86:87]                  // 000000006238: D3B14056 1802AD24
	v_pk_mul_f32 v[88:89], v[36:37], v[88:89]                  // 000000006240: D3B14058 1802B124
	v_pk_mul_f32 v[90:91], v[36:37], v[90:91]                  // 000000006248: D3B1405A 1802B524
	v_pk_mul_f32 v[92:93], v[36:37], v[92:93]                  // 000000006250: D3B1405C 1802B924
	v_pk_mul_f32 v[94:95], v[36:37], v[94:95]                  // 000000006258: D3B1405E 1802BD24
	v_pk_mul_f32 v[96:97], v[36:37], v[96:97]                  // 000000006260: D3B14060 1802C124
	v_pk_mul_f32 v[98:99], v[36:37], v[98:99]                  // 000000006268: D3B14062 1802C524
	v_pk_mul_f32 v[100:101], v[36:37], v[100:101]              // 000000006270: D3B14064 1802C924
	v_pk_mul_f32 v[102:103], v[36:37], v[102:103]              // 000000006278: D3B14066 1802CD24
	v_pk_mul_f32 v[104:105], v[36:37], v[104:105]              // 000000006280: D3B14068 1802D124
	v_pk_mul_f32 v[106:107], v[36:37], v[106:107]              // 000000006288: D3B1406A 1802D524
	v_pk_mul_f32 v[108:109], v[36:37], v[108:109]              // 000000006290: D3B1406C 1802D924
	v_pk_mul_f32 v[110:111], v[36:37], v[110:111]              // 000000006298: D3B1406E 1802DD24
	v_pk_mul_f32 v[112:113], v[36:37], v[112:113]              // 0000000062A0: D3B14070 1802E124
	v_pk_mul_f32 v[114:115], v[36:37], v[114:115]              // 0000000062A8: D3B14072 1802E524
	v_pk_mul_f32 v[116:117], v[36:37], v[116:117]              // 0000000062B0: D3B14074 1802E924
	v_pk_mul_f32 v[118:119], v[36:37], v[118:119]              // 0000000062B8: D3B14076 1802ED24
	v_pk_mul_f32 v[120:121], v[36:37], v[120:121]              // 0000000062C0: D3B14078 1802F124
	v_pk_mul_f32 v[122:123], v[36:37], v[122:123]              // 0000000062C8: D3B1407A 1802F524
	v_pk_mul_f32 v[124:125], v[36:37], v[124:125]              // 0000000062D0: D3B1407C 1802F924
	v_pk_mul_f32 v[126:127], v[36:37], v[126:127]              // 0000000062D8: D3B1407E 1802FD24
	v_pk_mul_f32 v[128:129], v[36:37], v[128:129]              // 0000000062E0: D3B14080 18030124
	v_pk_mul_f32 v[130:131], v[36:37], v[130:131]              // 0000000062E8: D3B14082 18030524
	v_pk_mul_f32 v[132:133], v[36:37], v[132:133]              // 0000000062F0: D3B14084 18030924
	v_pk_mul_f32 v[134:135], v[36:37], v[134:135]              // 0000000062F8: D3B14086 18030D24
	v_pk_mul_f32 v[136:137], v[36:37], v[136:137]              // 000000006300: D3B14088 18031124
	v_pk_mul_f32 v[138:139], v[36:37], v[138:139]              // 000000006308: D3B1408A 18031524
	v_pk_mul_f32 v[140:141], v[36:37], v[140:141]              // 000000006310: D3B1408C 18031924
	v_pk_mul_f32 v[142:143], v[36:37], v[142:143]              // 000000006318: D3B1408E 18031D24
	v_pk_mul_f32 v[144:145], v[36:37], v[144:145]              // 000000006320: D3B14090 18032124
	v_pk_mul_f32 v[146:147], v[36:37], v[146:147]              // 000000006328: D3B14092 18032524
	v_pk_mul_f32 v[148:149], v[36:37], v[148:149]              // 000000006330: D3B14094 18032924
	v_pk_mul_f32 v[150:151], v[36:37], v[150:151]              // 000000006338: D3B14096 18032D24
	v_pk_mul_f32 v[152:153], v[36:37], v[152:153]              // 000000006340: D3B14098 18033124
	v_pk_mul_f32 v[154:155], v[36:37], v[154:155]              // 000000006348: D3B1409A 18033524
	v_pk_mul_f32 v[156:157], v[36:37], v[156:157]              // 000000006350: D3B1409C 18033924
	v_pk_mul_f32 v[158:159], v[36:37], v[158:159]              // 000000006358: D3B1409E 18033D24
	v_pk_mul_f32 v[160:161], v[36:37], v[160:161]              // 000000006360: D3B140A0 18034124
	v_pk_mul_f32 v[162:163], v[36:37], v[162:163]              // 000000006368: D3B140A2 18034524
	v_pk_mul_f32 v[164:165], v[36:37], v[164:165]              // 000000006370: D3B140A4 18034924
	v_pk_mul_f32 v[166:167], v[36:37], v[166:167]              // 000000006378: D3B140A6 18034D24
	v_pk_mul_f32 v[168:169], v[36:37], v[168:169]              // 000000006380: D3B140A8 18035124
	v_pk_mul_f32 v[170:171], v[36:37], v[170:171]              // 000000006388: D3B140AA 18035524
	v_pk_mul_f32 v[172:173], v[36:37], v[172:173]              // 000000006390: D3B140AC 18035924
	v_pk_mul_f32 v[174:175], v[36:37], v[174:175]              // 000000006398: D3B140AE 18035D24
	v_pk_mul_f32 v[176:177], v[36:37], v[176:177]              // 0000000063A0: D3B140B0 18036124
	v_pk_mul_f32 v[178:179], v[36:37], v[178:179]              // 0000000063A8: D3B140B2 18036524
	v_pk_mul_f32 v[180:181], v[36:37], v[180:181]              // 0000000063B0: D3B140B4 18036924
	v_pk_mul_f32 v[182:183], v[36:37], v[182:183]              // 0000000063B8: D3B140B6 18036D24
	v_pk_mul_f32 v[184:185], v[36:37], v[184:185]              // 0000000063C0: D3B140B8 18037124
	v_pk_mul_f32 v[186:187], v[36:37], v[186:187]              // 0000000063C8: D3B140BA 18037524
	v_pk_mul_f32 v[188:189], v[36:37], v[188:189]              // 0000000063D0: D3B140BC 18037924
	v_pk_mul_f32 v[190:191], v[36:37], v[190:191]              // 0000000063D8: D3B140BE 18037D24
	v_pk_mul_f32 v[192:193], v[36:37], v[192:193]              // 0000000063E0: D3B140C0 18038124
	v_pk_mul_f32 v[194:195], v[36:37], v[194:195]              // 0000000063E8: D3B140C2 18038524
	v_pk_mul_f32 v[196:197], v[36:37], v[196:197]              // 0000000063F0: D3B140C4 18038924
	v_pk_mul_f32 v[198:199], v[36:37], v[198:199]              // 0000000063F8: D3B140C6 18038D24
	v_pk_mul_f32 v[200:201], v[36:37], v[200:201]              // 000000006400: D3B140C8 18039124
	v_pk_mul_f32 v[202:203], v[36:37], v[202:203]              // 000000006408: D3B140CA 18039524
	s_waitcnt vmcnt(0)                                         // 000000006410: BF8C0F70
	s_barrier                                                  // 000000006414: BF8A0000
	v_mfma_f32_32x32x64_f8f6f4 v[76:91], a[72:79], v[44:51], v[76:91]// 000000006418: D3AE004C 0D325948
	ds_read_b128 a[72:75], v26                                 // 000000006420: DBFE0000 4800001A
	ds_read_b128 a[76:79], v27                                 // 000000006428: DBFE0000 4C00001B
	v_mfma_f32_32x32x64_f8f6f4 v[92:107], a[80:87], v[44:51], v[92:107]// 000000006430: D3AE005C 0D725950
	ds_read_b128 a[80:83], v26 offset:1024                     // 000000006438: DBFE0400 5000001A
	ds_read_b128 a[84:87], v27 offset:1024                     // 000000006440: DBFE0400 5400001B
	v_mfma_f32_32x32x64_f8f6f4 v[108:123], a[88:95], v[44:51], v[108:123]// 000000006448: D3AE006C 0DB25958
	ds_read_b128 a[88:91], v26 offset:2048                     // 000000006450: DBFE0800 5800001A
	ds_read_b128 a[92:95], v27 offset:2048                     // 000000006458: DBFE0800 5C00001B
	v_mfma_f32_32x32x64_f8f6f4 v[124:139], a[96:103], v[44:51], v[124:139]// 000000006460: D3AE007C 0DF25960
	ds_read_b128 a[96:99], v26 offset:3072                     // 000000006468: DBFE0C00 6000001A
	ds_read_b128 a[100:103], v27 offset:3072                   // 000000006470: DBFE0C00 6400001B
	v_mfma_f32_32x32x64_f8f6f4 v[140:155], a[104:111], v[44:51], v[140:155]// 000000006478: D3AE008C 0E325968
	ds_read_b128 a[104:107], v26 offset:4096                   // 000000006480: DBFE1000 6800001A
	ds_read_b128 a[108:111], v27 offset:4096                   // 000000006488: DBFE1000 6C00001B
	v_mfma_f32_32x32x64_f8f6f4 v[156:171], a[112:119], v[44:51], v[156:171]// 000000006490: D3AE009C 0E725970
	ds_read_b128 a[112:115], v26 offset:5120                   // 000000006498: DBFE1400 7000001A
	ds_read_b128 a[116:119], v27 offset:5120                   // 0000000064A0: DBFE1400 7400001B
	v_mfma_f32_32x32x64_f8f6f4 v[172:187], a[120:127], v[44:51], v[172:187]// 0000000064A8: D3AE00AC 0EB25978
	ds_read_b128 a[120:123], v26 offset:6144                   // 0000000064B0: DBFE1800 7800001A
	ds_read_b128 a[124:127], v27 offset:6144                   // 0000000064B8: DBFE1800 7C00001B
	v_mfma_f32_32x32x64_f8f6f4 v[188:203], a[128:135], v[44:51], v[188:203]// 0000000064C0: D3AE00BC 0EF25980
	ds_read_b128 a[128:131], v26 offset:7168                   // 0000000064C8: DBFE1C00 8000001A
	ds_read_b128 a[132:135], v27 offset:7168                   // 0000000064D0: DBFE1C00 8400001B
	ds_read_b128 a[136:139], v26 offset:8192                   // 0000000064D8: DBFE2000 8800001A
	ds_read_b128 a[140:143], v27 offset:8192                   // 0000000064E0: DBFE2000 8C00001B
	s_branch label_5CDC                                        // 0000000064E8: BF8206FC

00000000000064ec <label_40EC>:
	s_mov_b32 s56, 64                                          // 0000000064EC: BEB800C0
	s_mul_i32 s83, s56, s71                                    // 0000000064F0: 92534738
	s_cmp_le_i32 s83, s82                                      // 0000000064F4: BF055253
	s_cbranch_scc1 label_42C8                                  // 0000000064F8: BF850073
	v_and_b32_e32 v35, 31, v0                                  // 0000000064FC: 2646009F
	v_lshrrev_b32_e32 v35, 3, v35                              // 000000006500: 20464683
	v_add_u32_e32 v35, s82, v35                                // 000000006504: 68464652
	s_and_b32 s56, 2, s7                                       // 000000006508: 86380782
	s_lshl_b32 s56, s56, 1                                     // 00000000650C: 8E388138
	v_add_u32_e32 v35, s56, v35                                // 000000006510: 68464638
	s_sub_u32 s56, s83, 64                                     // 000000006514: 80B8C053
	v_lshrrev_b32_e32 v204, 5, v0                              // 000000006518: 21980085
	v_mul_i32_i24_e32 v204, 4, v204                            // 00000000651C: 0D999884
	v_add_u32_e32 v204, s56, v204                              // 000000006520: 69999838
	s_and_b32 s56, s7, 1                                       // 000000006524: 86388107
	s_mov_b32 s57, 32                                          // 000000006528: BEB900A0
	s_mul_i32 s56, s57, s56                                    // 00000000652C: 92383839
	v_add_u32_e32 v204, s56, v204                              // 000000006530: 69999838
	v_add_u32_e32 v205, 1, v204                                // 000000006534: 699B9881
	v_add_u32_e32 v206, 2, v204                                // 000000006538: 699D9882
	v_add_u32_e32 v207, 3, v204                                // 00000000653C: 699F9883
	v_mov_b32_e32 v37, 0xff800000                              // 000000006540: 7E4A02FF FF800000
	v_cmp_le_i32_e64 s[36:37], v204, v35                       // 000000006548: D0C30024 000247CC
	s_nop 0                                                    // 000000006550: BF800000
	v_cndmask_b32_e64 v60, v37, v60, s[36:37]                  // 000000006554: D100003C 00927925
	v_add_u32_e32 v204, 8, v204                                // 00000000655C: 69999888
	v_cmp_le_i32_e64 s[36:37], v205, v35                       // 000000006560: D0C30024 000247CD
	s_nop 0                                                    // 000000006568: BF800000
	v_cndmask_b32_e64 v61, v37, v61, s[36:37]                  // 00000000656C: D100003D 00927B25
	v_add_u32_e32 v205, 8, v205                                // 000000006574: 699B9A88
	v_cmp_le_i32_e64 s[36:37], v206, v35                       // 000000006578: D0C30024 000247CE
	s_nop 0                                                    // 000000006580: BF800000
	v_cndmask_b32_e64 v62, v37, v62, s[36:37]                  // 000000006584: D100003E 00927D25
	v_add_u32_e32 v206, 8, v206                                // 00000000658C: 699D9C88
	v_cmp_le_i32_e64 s[36:37], v207, v35                       // 000000006590: D0C30024 000247CF
	s_nop 0                                                    // 000000006598: BF800000
	v_cndmask_b32_e64 v63, v37, v63, s[36:37]                  // 00000000659C: D100003F 00927F25
	v_add_u32_e32 v207, 8, v207                                // 0000000065A4: 699F9E88
	v_cmp_le_i32_e64 s[36:37], v204, v35                       // 0000000065A8: D0C30024 000247CC
	s_nop 0                                                    // 0000000065B0: BF800000
	v_cndmask_b32_e64 v64, v37, v64, s[36:37]                  // 0000000065B4: D1000040 00928125
	v_add_u32_e32 v204, 8, v204                                // 0000000065BC: 69999888
	v_cmp_le_i32_e64 s[36:37], v205, v35                       // 0000000065C0: D0C30024 000247CD
	s_nop 0                                                    // 0000000065C8: BF800000
	v_cndmask_b32_e64 v65, v37, v65, s[36:37]                  // 0000000065CC: D1000041 00928325
	v_add_u32_e32 v205, 8, v205                                // 0000000065D4: 699B9A88
	v_cmp_le_i32_e64 s[36:37], v206, v35                       // 0000000065D8: D0C30024 000247CE
	s_nop 0                                                    // 0000000065E0: BF800000
	v_cndmask_b32_e64 v66, v37, v66, s[36:37]                  // 0000000065E4: D1000042 00928525
	v_add_u32_e32 v206, 8, v206                                // 0000000065EC: 699D9C88
	v_cmp_le_i32_e64 s[36:37], v207, v35                       // 0000000065F0: D0C30024 000247CF
	s_nop 0                                                    // 0000000065F8: BF800000
	v_cndmask_b32_e64 v67, v37, v67, s[36:37]                  // 0000000065FC: D1000043 00928725
	v_add_u32_e32 v207, 8, v207                                // 000000006604: 699F9E88
	v_cmp_le_i32_e64 s[36:37], v204, v35                       // 000000006608: D0C30024 000247CC
	s_nop 0                                                    // 000000006610: BF800000
	v_cndmask_b32_e64 v68, v37, v68, s[36:37]                  // 000000006614: D1000044 00928925
	v_add_u32_e32 v204, 8, v204                                // 00000000661C: 69999888
	v_cmp_le_i32_e64 s[36:37], v205, v35                       // 000000006620: D0C30024 000247CD
	s_nop 0                                                    // 000000006628: BF800000
	v_cndmask_b32_e64 v69, v37, v69, s[36:37]                  // 00000000662C: D1000045 00928B25
	v_add_u32_e32 v205, 8, v205                                // 000000006634: 699B9A88
	v_cmp_le_i32_e64 s[36:37], v206, v35                       // 000000006638: D0C30024 000247CE
	s_nop 0                                                    // 000000006640: BF800000
	v_cndmask_b32_e64 v70, v37, v70, s[36:37]                  // 000000006644: D1000046 00928D25
	v_add_u32_e32 v206, 8, v206                                // 00000000664C: 699D9C88
	v_cmp_le_i32_e64 s[36:37], v207, v35                       // 000000006650: D0C30024 000247CF
	s_nop 0                                                    // 000000006658: BF800000
	v_cndmask_b32_e64 v71, v37, v71, s[36:37]                  // 00000000665C: D1000047 00928F25
	v_add_u32_e32 v207, 8, v207                                // 000000006664: 699F9E88
	v_cmp_le_i32_e64 s[36:37], v204, v35                       // 000000006668: D0C30024 000247CC
	s_nop 0                                                    // 000000006670: BF800000
	v_cndmask_b32_e64 v72, v37, v72, s[36:37]                  // 000000006674: D1000048 00929125
	v_add_u32_e32 v204, 8, v204                                // 00000000667C: 69999888
	v_cmp_le_i32_e64 s[36:37], v205, v35                       // 000000006680: D0C30024 000247CD
	s_nop 0                                                    // 000000006688: BF800000
	v_cndmask_b32_e64 v73, v37, v73, s[36:37]                  // 00000000668C: D1000049 00929325
	v_add_u32_e32 v205, 8, v205                                // 000000006694: 699B9A88
	v_cmp_le_i32_e64 s[36:37], v206, v35                       // 000000006698: D0C30024 000247CE
	s_nop 0                                                    // 0000000066A0: BF800000
	v_cndmask_b32_e64 v74, v37, v74, s[36:37]                  // 0000000066A4: D100004A 00929525
	v_add_u32_e32 v206, 8, v206                                // 0000000066AC: 699D9C88
	v_cmp_le_i32_e64 s[36:37], v207, v35                       // 0000000066B0: D0C30024 000247CF
	s_nop 0                                                    // 0000000066B8: BF800000
	v_cndmask_b32_e64 v75, v37, v75, s[36:37]                  // 0000000066BC: D100004B 00929725
	v_add_u32_e32 v207, 8, v207                                // 0000000066C4: 699F9E88

00000000000066c8 <label_42C8>:
	s_add_u32 s83, s84, s83                                    // 0000000066C8: 80535354
	s_nop 2                                                    // 0000000066CC: BF800002
	v_mov_b32_e32 v213, v60                                    // 0000000066D0: 7FAA033C
	v_max3_f32 v213, v60, v61, v213                            // 0000000066D4: D1D300D5 07567B3C
	v_max3_f32 v213, v62, v63, v213                            // 0000000066DC: D1D300D5 07567F3E
	v_max3_f32 v213, v64, v65, v213                            // 0000000066E4: D1D300D5 07568340
	v_max3_f32 v213, v66, v67, v213                            // 0000000066EC: D1D300D5 07568742
	v_max3_f32 v213, v68, v69, v213                            // 0000000066F4: D1D300D5 07568B44
	v_max3_f32 v213, v70, v71, v213                            // 0000000066FC: D1D300D5 07568F46
	v_max3_f32 v213, v72, v73, v213                            // 000000006704: D1D300D5 07569348
	v_max3_f32 v213, v74, v75, v213                            // 00000000670C: D1D300D5 0756974A
	v_mov_b32_e32 v35, v213                                    // 000000006714: 7E4603D5
	v_mov_b32_e32 v36, v213                                    // 000000006718: 7E4803D5
	s_nop 1                                                    // 00000000671C: BF800001
	v_permlane32_swap_b32_e32 v35, v36                         // 000000006720: 7E46B524
	v_max3_f32 v213, v35, v36, v213                            // 000000006724: D1D300D5 07564923
	ds_write_b32 v41, v213                                     // 00000000672C: D81A0000 0000D529
	s_waitcnt lgkmcnt(0)                                       // 000000006734: BF8CC07F
	s_barrier                                                  // 000000006738: BF8A0000
	ds_read_b32 v35, v40                                       // 00000000673C: D86C0000 23000028
	ds_read_b32 v36, v40 offset:256                            // 000000006744: D86C0100 24000028
	s_waitcnt lgkmcnt(0)                                       // 00000000674C: BF8CC07F
	v_max3_f32 v213, v35, v36, v213                            // 000000006750: D1D300D5 07564923
	v_mov_b32_e32 v35, 0xff800000                              // 000000006758: 7E4602FF FF800000
	v_cmp_eq_u32_e64 s[36:37], v35, v2                         // 000000006760: D0CA0024 00020523
	v_max_f32_e32 v216, v213, v2                               // 000000006768: 17B005D5
	v_sub_f32_e32 v21, v2, v216                                // 00000000676C: 042BB102
	v_cndmask_b32_e64 v21, v21, 0, s[36:37]                    // 000000006770: D1000015 00910115
	v_mov_b32_e32 v2, v216                                     // 000000006778: 7E0403D8
	v_mul_f32_e32 v212, s5, v216                               // 00000000677C: 0BA9B005
	v_mul_f32_e32 v21, s5, v21                                 // 000000006780: 0A2A2A05
	v_exp_f32_e32 v21, v21                                     // 000000006784: 7E2A4115
	v_fma_f32 v60, v60, s5, -v212                              // 000000006788: D1CB003C 87500B3C
	v_fma_f32 v61, v61, s5, -v212                              // 000000006790: D1CB003D 87500B3D
	v_fma_f32 v62, v62, s5, -v212                              // 000000006798: D1CB003E 87500B3E
	v_fma_f32 v63, v63, s5, -v212                              // 0000000067A0: D1CB003F 87500B3F
	v_fma_f32 v64, v64, s5, -v212                              // 0000000067A8: D1CB0040 87500B40
	v_fma_f32 v65, v65, s5, -v212                              // 0000000067B0: D1CB0041 87500B41
	v_fma_f32 v66, v66, s5, -v212                              // 0000000067B8: D1CB0042 87500B42
	v_fma_f32 v67, v67, s5, -v212                              // 0000000067C0: D1CB0043 87500B43
	v_fma_f32 v68, v68, s5, -v212                              // 0000000067C8: D1CB0044 87500B44
	v_fma_f32 v69, v69, s5, -v212                              // 0000000067D0: D1CB0045 87500B45
	v_fma_f32 v70, v70, s5, -v212                              // 0000000067D8: D1CB0046 87500B46
	v_fma_f32 v71, v71, s5, -v212                              // 0000000067E0: D1CB0047 87500B47
	v_fma_f32 v72, v72, s5, -v212                              // 0000000067E8: D1CB0048 87500B48
	v_fma_f32 v73, v73, s5, -v212                              // 0000000067F0: D1CB0049 87500B49
	v_fma_f32 v74, v74, s5, -v212                              // 0000000067F8: D1CB004A 87500B4A
	v_fma_f32 v75, v75, s5, -v212                              // 000000006800: D1CB004B 87500B4B
	v_mov_b32_e32 v35, 0xffc00000                              // 000000006808: 7E4602FF FFC00000
	v_exp_f32_e32 v60, v60                                     // 000000006810: 7E78413C
	v_exp_f32_e32 v61, v61                                     // 000000006814: 7E7A413D
	v_exp_f32_e32 v62, v62                                     // 000000006818: 7E7C413E
	v_exp_f32_e32 v63, v63                                     // 00000000681C: 7E7E413F
	v_exp_f32_e32 v64, v64                                     // 000000006820: 7E804140
	v_exp_f32_e32 v65, v65                                     // 000000006824: 7E824141
	v_exp_f32_e32 v66, v66                                     // 000000006828: 7E844142
	v_exp_f32_e32 v67, v67                                     // 00000000682C: 7E864143
	v_exp_f32_e32 v68, v68                                     // 000000006830: 7E884144
	v_exp_f32_e32 v69, v69                                     // 000000006834: 7E8A4145
	v_exp_f32_e32 v70, v70                                     // 000000006838: 7E8C4146
	v_exp_f32_e32 v71, v71                                     // 00000000683C: 7E8E4147
	v_exp_f32_e32 v72, v72                                     // 000000006840: 7E904148
	v_exp_f32_e32 v73, v73                                     // 000000006844: 7E924149
	v_exp_f32_e32 v74, v74                                     // 000000006848: 7E94414A
	v_exp_f32_e32 v75, v75                                     // 00000000684C: 7E96414B
	v_mul_f32_e32 v4, v21, v4                                  // 000000006850: 0A080915
	v_mov_b32_e32 v35, v60                                     // 000000006854: 7E46033C
	v_add_f32_e32 v35, v61, v35                                // 000000006858: 0246473D
	v_add_f32_e32 v35, v62, v35                                // 00000000685C: 0246473E
	v_add_f32_e32 v35, v63, v35                                // 000000006860: 0246473F
	v_add_f32_e32 v35, v64, v35                                // 000000006864: 02464740
	v_add_f32_e32 v35, v65, v35                                // 000000006868: 02464741
	v_add_f32_e32 v35, v66, v35                                // 00000000686C: 02464742
	v_add_f32_e32 v35, v67, v35                                // 000000006870: 02464743
	v_add_f32_e32 v35, v68, v35                                // 000000006874: 02464744
	;; [unrolled: 1-line block ×3, first 2 shown]
	v_add_f32_e32 v35, v70, v35                                // 00000000687C: 02464746
	v_add_f32_e32 v35, v71, v35                                // 000000006880: 02464747
	v_add_f32_e32 v35, v72, v35                                // 000000006884: 02464748
	;; [unrolled: 1-line block ×3, first 2 shown]
	v_add_f32_e32 v35, v74, v35                                // 00000000688C: 0246474A
	v_add_f32_e32 v35, v75, v35                                // 000000006890: 0246474B
	v_add_f32_e32 v4, v35, v4                                  // 000000006894: 02080923
	v_cvt_pk_fp8_f32 v60, v60, v61                             // 000000006898: D2A2003C 00027B3C
	v_cvt_pk_fp8_f32 v60, v62, v63 op_sel:[0,0,1]              // 0000000068A0: D2A2403C 00027F3E
	v_cvt_pk_fp8_f32 v61, v64, v65                             // 0000000068A8: D2A2003D 00028340
	v_cvt_pk_fp8_f32 v61, v66, v67 op_sel:[0,0,1]              // 0000000068B0: D2A2403D 00028742
	v_cvt_pk_fp8_f32 v62, v68, v69                             // 0000000068B8: D2A2003E 00028B44
	v_cvt_pk_fp8_f32 v62, v70, v71 op_sel:[0,0,1]              // 0000000068C0: D2A2403E 00028F46
	v_cvt_pk_fp8_f32 v63, v72, v73                             // 0000000068C8: D2A2003F 00029348
	v_cvt_pk_fp8_f32 v63, v74, v75 op_sel:[0,0,1]              // 0000000068D0: D2A2403F 0002974A
	ds_write_b128 v43, v[60:63] offset:1024                    // 0000000068D8: D9BE0400 00003C2B
	s_waitcnt lgkmcnt(0)                                       // 0000000068E0: BF8CC07F
	s_barrier                                                  // 0000000068E4: BF8A0000
	ds_read_b128 v[60:63], v42 offset:1024                     // 0000000068E8: D9FE0400 3C00002A
	ds_read_b128 v[64:67], v42 offset:2048                     // 0000000068F0: D9FE0800 4000002A
	s_waitcnt lgkmcnt(0)                                       // 0000000068F8: BF8CC07F
	v_permlane32_swap_b32_e32 v60, v62                         // 0000000068FC: 7E78B53E
	v_permlane32_swap_b32_e32 v61, v63                         // 000000006900: 7E7AB53F
	v_swap_b32 v61, v62                                        // 000000006904: 7E7AA33E
	v_permlane32_swap_b32_e32 v64, v66                         // 000000006908: 7E80B542
	v_permlane32_swap_b32_e32 v65, v67                         // 00000000690C: 7E82B543
	v_swap_b32 v65, v66                                        // 000000006910: 7E82A342
	ds_read_b64_tr_b8 a[72:73], v9                             // 000000006914: DBC40000 48000009
	ds_read_b64_tr_b8 a[74:75], v10                            // 00000000691C: DBC40000 4A00000A
	ds_read_b64_tr_b8 a[76:77], v9 offset:18432                // 000000006924: DBC44800 4C000009
	ds_read_b64_tr_b8 a[78:79], v10 offset:18432               // 00000000692C: DBC44800 4E00000A
	ds_read_b64_tr_b8 a[80:81], v11                            // 000000006934: DBC40000 5000000B
	ds_read_b64_tr_b8 a[82:83], v12                            // 00000000693C: DBC40000 5200000C
	ds_read_b64_tr_b8 a[84:85], v11 offset:18432               // 000000006944: DBC44800 5400000B
	ds_read_b64_tr_b8 a[86:87], v12 offset:18432               // 00000000694C: DBC44800 5600000C
	ds_read_b64_tr_b8 a[88:89], v9 offset:1024                 // 000000006954: DBC40400 58000009
	ds_read_b64_tr_b8 a[90:91], v10 offset:1024                // 00000000695C: DBC40400 5A00000A
	ds_read_b64_tr_b8 a[92:93], v9 offset:19456                // 000000006964: DBC44C00 5C000009
	ds_read_b64_tr_b8 a[94:95], v10 offset:19456               // 00000000696C: DBC44C00 5E00000A
	ds_read_b64_tr_b8 a[96:97], v11 offset:1024                // 000000006974: DBC40400 6000000B
	ds_read_b64_tr_b8 a[98:99], v12 offset:1024                // 00000000697C: DBC40400 6200000C
	ds_read_b64_tr_b8 a[100:101], v11 offset:19456             // 000000006984: DBC44C00 6400000B
	ds_read_b64_tr_b8 a[102:103], v12 offset:19456             // 00000000698C: DBC44C00 6600000C
	ds_read_b64_tr_b8 a[104:105], v9 offset:2048               // 000000006994: DBC40800 68000009
	ds_read_b64_tr_b8 a[106:107], v10 offset:2048              // 00000000699C: DBC40800 6A00000A
	ds_read_b64_tr_b8 a[108:109], v9 offset:20480              // 0000000069A4: DBC45000 6C000009
	ds_read_b64_tr_b8 a[110:111], v10 offset:20480             // 0000000069AC: DBC45000 6E00000A
	ds_read_b64_tr_b8 a[112:113], v11 offset:2048              // 0000000069B4: DBC40800 7000000B
	ds_read_b64_tr_b8 a[114:115], v12 offset:2048              // 0000000069BC: DBC40800 7200000C
	ds_read_b64_tr_b8 a[116:117], v11 offset:20480             // 0000000069C4: DBC45000 7400000B
	ds_read_b64_tr_b8 a[118:119], v12 offset:20480             // 0000000069CC: DBC45000 7600000C
	ds_read_b64_tr_b8 a[120:121], v9 offset:3072               // 0000000069D4: DBC40C00 78000009
	ds_read_b64_tr_b8 a[122:123], v10 offset:3072              // 0000000069DC: DBC40C00 7A00000A
	ds_read_b64_tr_b8 a[124:125], v9 offset:21504              // 0000000069E4: DBC45400 7C000009
	ds_read_b64_tr_b8 a[126:127], v10 offset:21504             // 0000000069EC: DBC45400 7E00000A
	ds_read_b64_tr_b8 a[128:129], v11 offset:3072              // 0000000069F4: DBC40C00 8000000B
	ds_read_b64_tr_b8 a[130:131], v12 offset:3072              // 0000000069FC: DBC40C00 8200000C
	ds_read_b64_tr_b8 a[132:133], v11 offset:21504             // 000000006A04: DBC45400 8400000B
	ds_read_b64_tr_b8 a[134:135], v12 offset:21504             // 000000006A0C: DBC45400 8600000C
	s_waitcnt lgkmcnt(4)                                       // 000000006A14: BF8CC47F
	v_mfma_f32_32x32x64_f8f6f4 v[76:91], a[72:79], v[44:51], v[76:91]// 000000006A18: D3AE004C 0D325948
	ds_read_b64_tr_b8 a[72:73], v13                            // 000000006A20: DBC40000 4800000D
	ds_read_b64_tr_b8 a[74:75], v14                            // 000000006A28: DBC40000 4A00000E
	ds_read_b64_tr_b8 a[76:77], v13 offset:18432               // 000000006A30: DBC44800 4C00000D
	ds_read_b64_tr_b8 a[78:79], v14 offset:18432               // 000000006A38: DBC44800 4E00000E
	v_mfma_f32_32x32x64_f8f6f4 v[92:107], a[80:87], v[44:51], v[92:107]// 000000006A40: D3AE005C 0D725950
	ds_read_b64_tr_b8 a[80:81], v15                            // 000000006A48: DBC40000 5000000F
	ds_read_b64_tr_b8 a[82:83], v16                            // 000000006A50: DBC40000 52000010
	ds_read_b64_tr_b8 a[84:85], v15 offset:18432               // 000000006A58: DBC44800 5400000F
	ds_read_b64_tr_b8 a[86:87], v16 offset:18432               // 000000006A60: DBC44800 56000010
	v_mfma_f32_32x32x64_f8f6f4 v[108:123], a[88:95], v[44:51], v[108:123]// 000000006A68: D3AE006C 0DB25958
	ds_read_b64_tr_b8 a[88:89], v13 offset:1024                // 000000006A70: DBC40400 5800000D
	ds_read_b64_tr_b8 a[90:91], v14 offset:1024                // 000000006A78: DBC40400 5A00000E
	ds_read_b64_tr_b8 a[92:93], v13 offset:19456               // 000000006A80: DBC44C00 5C00000D
	ds_read_b64_tr_b8 a[94:95], v14 offset:19456               // 000000006A88: DBC44C00 5E00000E
	v_mfma_f32_32x32x64_f8f6f4 v[124:139], a[96:103], v[44:51], v[124:139]// 000000006A90: D3AE007C 0DF25960
	ds_read_b64_tr_b8 a[96:97], v15 offset:1024                // 000000006A98: DBC40400 6000000F
	ds_read_b64_tr_b8 a[98:99], v16 offset:1024                // 000000006AA0: DBC40400 62000010
	ds_read_b64_tr_b8 a[100:101], v15 offset:19456             // 000000006AA8: DBC44C00 6400000F
	ds_read_b64_tr_b8 a[102:103], v16 offset:19456             // 000000006AB0: DBC44C00 66000010
	v_mfma_f32_32x32x64_f8f6f4 v[140:155], a[104:111], v[44:51], v[140:155]// 000000006AB8: D3AE008C 0E325968
	ds_read_b64_tr_b8 a[104:105], v13 offset:2048              // 000000006AC0: DBC40800 6800000D
	ds_read_b64_tr_b8 a[106:107], v14 offset:2048              // 000000006AC8: DBC40800 6A00000E
	ds_read_b64_tr_b8 a[108:109], v13 offset:20480             // 000000006AD0: DBC45000 6C00000D
	ds_read_b64_tr_b8 a[110:111], v14 offset:20480             // 000000006AD8: DBC45000 6E00000E
	v_mfma_f32_32x32x64_f8f6f4 v[156:171], a[112:119], v[44:51], v[156:171]// 000000006AE0: D3AE009C 0E725970
	ds_read_b64_tr_b8 a[112:113], v15 offset:2048              // 000000006AE8: DBC40800 7000000F
	ds_read_b64_tr_b8 a[114:115], v16 offset:2048              // 000000006AF0: DBC40800 72000010
	ds_read_b64_tr_b8 a[116:117], v15 offset:20480             // 000000006AF8: DBC45000 7400000F
	ds_read_b64_tr_b8 a[118:119], v16 offset:20480             // 000000006B00: DBC45000 76000010
	v_mfma_f32_32x32x64_f8f6f4 v[172:187], a[120:127], v[44:51], v[172:187]// 000000006B08: D3AE00AC 0EB25978
	ds_read_b64_tr_b8 a[120:121], v13 offset:3072              // 000000006B10: DBC40C00 7800000D
	ds_read_b64_tr_b8 a[122:123], v14 offset:3072              // 000000006B18: DBC40C00 7A00000E
	ds_read_b64_tr_b8 a[124:125], v13 offset:21504             // 000000006B20: DBC45400 7C00000D
	ds_read_b64_tr_b8 a[126:127], v14 offset:21504             // 000000006B28: DBC45400 7E00000E
	v_mfma_f32_32x32x64_f8f6f4 v[188:203], a[128:135], v[44:51], v[188:203]// 000000006B30: D3AE00BC 0EF25980
	ds_read_b64_tr_b8 a[128:129], v15 offset:3072              // 000000006B38: DBC40C00 8000000F
	ds_read_b64_tr_b8 a[130:131], v16 offset:3072              // 000000006B40: DBC40C00 82000010
	ds_read_b64_tr_b8 a[132:133], v15 offset:21504             // 000000006B48: DBC45400 8400000F
	ds_read_b64_tr_b8 a[134:135], v16 offset:21504             // 000000006B50: DBC45400 86000010
	v_mov_b32_e32 v36, v21                                     // 000000006B58: 7E480315
	v_mov_b32_e32 v37, v21                                     // 000000006B5C: 7E4A0315
	v_pk_mul_f32 v[76:77], v[36:37], v[76:77]                  // 000000006B60: D3B1404C 18029924
	v_pk_mul_f32 v[78:79], v[36:37], v[78:79]                  // 000000006B68: D3B1404E 18029D24
	v_pk_mul_f32 v[80:81], v[36:37], v[80:81]                  // 000000006B70: D3B14050 1802A124
	v_pk_mul_f32 v[82:83], v[36:37], v[82:83]                  // 000000006B78: D3B14052 1802A524
	v_pk_mul_f32 v[84:85], v[36:37], v[84:85]                  // 000000006B80: D3B14054 1802A924
	v_pk_mul_f32 v[86:87], v[36:37], v[86:87]                  // 000000006B88: D3B14056 1802AD24
	v_pk_mul_f32 v[88:89], v[36:37], v[88:89]                  // 000000006B90: D3B14058 1802B124
	v_pk_mul_f32 v[90:91], v[36:37], v[90:91]                  // 000000006B98: D3B1405A 1802B524
	v_pk_mul_f32 v[92:93], v[36:37], v[92:93]                  // 000000006BA0: D3B1405C 1802B924
	v_pk_mul_f32 v[94:95], v[36:37], v[94:95]                  // 000000006BA8: D3B1405E 1802BD24
	v_pk_mul_f32 v[96:97], v[36:37], v[96:97]                  // 000000006BB0: D3B14060 1802C124
	v_pk_mul_f32 v[98:99], v[36:37], v[98:99]                  // 000000006BB8: D3B14062 1802C524
	v_pk_mul_f32 v[100:101], v[36:37], v[100:101]              // 000000006BC0: D3B14064 1802C924
	v_pk_mul_f32 v[102:103], v[36:37], v[102:103]              // 000000006BC8: D3B14066 1802CD24
	v_pk_mul_f32 v[104:105], v[36:37], v[104:105]              // 000000006BD0: D3B14068 1802D124
	v_pk_mul_f32 v[106:107], v[36:37], v[106:107]              // 000000006BD8: D3B1406A 1802D524
	v_pk_mul_f32 v[108:109], v[36:37], v[108:109]              // 000000006BE0: D3B1406C 1802D924
	v_pk_mul_f32 v[110:111], v[36:37], v[110:111]              // 000000006BE8: D3B1406E 1802DD24
	v_pk_mul_f32 v[112:113], v[36:37], v[112:113]              // 000000006BF0: D3B14070 1802E124
	v_pk_mul_f32 v[114:115], v[36:37], v[114:115]              // 000000006BF8: D3B14072 1802E524
	v_pk_mul_f32 v[116:117], v[36:37], v[116:117]              // 000000006C00: D3B14074 1802E924
	v_pk_mul_f32 v[118:119], v[36:37], v[118:119]              // 000000006C08: D3B14076 1802ED24
	v_pk_mul_f32 v[120:121], v[36:37], v[120:121]              // 000000006C10: D3B14078 1802F124
	v_pk_mul_f32 v[122:123], v[36:37], v[122:123]              // 000000006C18: D3B1407A 1802F524
	v_pk_mul_f32 v[124:125], v[36:37], v[124:125]              // 000000006C20: D3B1407C 1802F924
	v_pk_mul_f32 v[126:127], v[36:37], v[126:127]              // 000000006C28: D3B1407E 1802FD24
	v_pk_mul_f32 v[128:129], v[36:37], v[128:129]              // 000000006C30: D3B14080 18030124
	v_pk_mul_f32 v[130:131], v[36:37], v[130:131]              // 000000006C38: D3B14082 18030524
	v_pk_mul_f32 v[132:133], v[36:37], v[132:133]              // 000000006C40: D3B14084 18030924
	v_pk_mul_f32 v[134:135], v[36:37], v[134:135]              // 000000006C48: D3B14086 18030D24
	v_pk_mul_f32 v[136:137], v[36:37], v[136:137]              // 000000006C50: D3B14088 18031124
	v_pk_mul_f32 v[138:139], v[36:37], v[138:139]              // 000000006C58: D3B1408A 18031524
	v_pk_mul_f32 v[140:141], v[36:37], v[140:141]              // 000000006C60: D3B1408C 18031924
	v_pk_mul_f32 v[142:143], v[36:37], v[142:143]              // 000000006C68: D3B1408E 18031D24
	v_pk_mul_f32 v[144:145], v[36:37], v[144:145]              // 000000006C70: D3B14090 18032124
	v_pk_mul_f32 v[146:147], v[36:37], v[146:147]              // 000000006C78: D3B14092 18032524
	v_pk_mul_f32 v[148:149], v[36:37], v[148:149]              // 000000006C80: D3B14094 18032924
	v_pk_mul_f32 v[150:151], v[36:37], v[150:151]              // 000000006C88: D3B14096 18032D24
	v_pk_mul_f32 v[152:153], v[36:37], v[152:153]              // 000000006C90: D3B14098 18033124
	v_pk_mul_f32 v[154:155], v[36:37], v[154:155]              // 000000006C98: D3B1409A 18033524
	v_pk_mul_f32 v[156:157], v[36:37], v[156:157]              // 000000006CA0: D3B1409C 18033924
	v_pk_mul_f32 v[158:159], v[36:37], v[158:159]              // 000000006CA8: D3B1409E 18033D24
	v_pk_mul_f32 v[160:161], v[36:37], v[160:161]              // 000000006CB0: D3B140A0 18034124
	v_pk_mul_f32 v[162:163], v[36:37], v[162:163]              // 000000006CB8: D3B140A2 18034524
	v_pk_mul_f32 v[164:165], v[36:37], v[164:165]              // 000000006CC0: D3B140A4 18034924
	v_pk_mul_f32 v[166:167], v[36:37], v[166:167]              // 000000006CC8: D3B140A6 18034D24
	v_pk_mul_f32 v[168:169], v[36:37], v[168:169]              // 000000006CD0: D3B140A8 18035124
	v_pk_mul_f32 v[170:171], v[36:37], v[170:171]              // 000000006CD8: D3B140AA 18035524
	v_pk_mul_f32 v[172:173], v[36:37], v[172:173]              // 000000006CE0: D3B140AC 18035924
	v_pk_mul_f32 v[174:175], v[36:37], v[174:175]              // 000000006CE8: D3B140AE 18035D24
	v_pk_mul_f32 v[176:177], v[36:37], v[176:177]              // 000000006CF0: D3B140B0 18036124
	v_pk_mul_f32 v[178:179], v[36:37], v[178:179]              // 000000006CF8: D3B140B2 18036524
	v_pk_mul_f32 v[180:181], v[36:37], v[180:181]              // 000000006D00: D3B140B4 18036924
	v_pk_mul_f32 v[182:183], v[36:37], v[182:183]              // 000000006D08: D3B140B6 18036D24
	v_pk_mul_f32 v[184:185], v[36:37], v[184:185]              // 000000006D10: D3B140B8 18037124
	v_pk_mul_f32 v[186:187], v[36:37], v[186:187]              // 000000006D18: D3B140BA 18037524
	v_pk_mul_f32 v[188:189], v[36:37], v[188:189]              // 000000006D20: D3B140BC 18037924
	v_pk_mul_f32 v[190:191], v[36:37], v[190:191]              // 000000006D28: D3B140BE 18037D24
	v_pk_mul_f32 v[192:193], v[36:37], v[192:193]              // 000000006D30: D3B140C0 18038124
	v_pk_mul_f32 v[194:195], v[36:37], v[194:195]              // 000000006D38: D3B140C2 18038524
	v_pk_mul_f32 v[196:197], v[36:37], v[196:197]              // 000000006D40: D3B140C4 18038924
	v_pk_mul_f32 v[198:199], v[36:37], v[198:199]              // 000000006D48: D3B140C6 18038D24
	v_pk_mul_f32 v[200:201], v[36:37], v[200:201]              // 000000006D50: D3B140C8 18039124
	v_pk_mul_f32 v[202:203], v[36:37], v[202:203]              // 000000006D58: D3B140CA 18039524
	s_waitcnt vmcnt(0)                                         // 000000006D60: BF8C0F70
	s_barrier                                                  // 000000006D64: BF8A0000
	v_mfma_f32_32x32x64_f8f6f4 v[76:91], a[72:79], v[60:67], v[76:91]// 000000006D68: D3AE004C 0D327948
	ds_read_b128 a[72:75], v28                                 // 000000006D70: DBFE0000 4800001C
	ds_read_b128 a[76:79], v29                                 // 000000006D78: DBFE0000 4C00001D
	v_mfma_f32_32x32x64_f8f6f4 v[92:107], a[80:87], v[60:67], v[92:107]// 000000006D80: D3AE005C 0D727950
	ds_read_b128 a[80:83], v28 offset:1024                     // 000000006D88: DBFE0400 5000001C
	ds_read_b128 a[84:87], v29 offset:1024                     // 000000006D90: DBFE0400 5400001D
	v_mfma_f32_32x32x64_f8f6f4 v[108:123], a[88:95], v[60:67], v[108:123]// 000000006D98: D3AE006C 0DB27958
	ds_read_b128 a[88:91], v28 offset:2048                     // 000000006DA0: DBFE0800 5800001C
	ds_read_b128 a[92:95], v29 offset:2048                     // 000000006DA8: DBFE0800 5C00001D
	v_mfma_f32_32x32x64_f8f6f4 v[124:139], a[96:103], v[60:67], v[124:139]// 000000006DB0: D3AE007C 0DF27960
	ds_read_b128 a[96:99], v28 offset:3072                     // 000000006DB8: DBFE0C00 6000001C
	ds_read_b128 a[100:103], v29 offset:3072                   // 000000006DC0: DBFE0C00 6400001D
	v_mfma_f32_32x32x64_f8f6f4 v[140:155], a[104:111], v[60:67], v[140:155]// 000000006DC8: D3AE008C 0E327968
	ds_read_b128 a[104:107], v28 offset:4096                   // 000000006DD0: DBFE1000 6800001C
	ds_read_b128 a[108:111], v29 offset:4096                   // 000000006DD8: DBFE1000 6C00001D
	v_mfma_f32_32x32x64_f8f6f4 v[156:171], a[112:119], v[60:67], v[156:171]// 000000006DE0: D3AE009C 0E727970
	ds_read_b128 a[112:115], v28 offset:5120                   // 000000006DE8: DBFE1400 7000001C
	ds_read_b128 a[116:119], v29 offset:5120                   // 000000006DF0: DBFE1400 7400001D
	v_mfma_f32_32x32x64_f8f6f4 v[172:187], a[120:127], v[60:67], v[172:187]// 000000006DF8: D3AE00AC 0EB27978
	ds_read_b128 a[120:123], v28 offset:6144                   // 000000006E00: DBFE1800 7800001C
	ds_read_b128 a[124:127], v29 offset:6144                   // 000000006E08: DBFE1800 7C00001D
	v_mfma_f32_32x32x64_f8f6f4 v[188:203], a[128:135], v[60:67], v[188:203]// 000000006E10: D3AE00BC 0EF27980
	ds_read_b128 a[128:131], v28 offset:7168                   // 000000006E18: DBFE1C00 8000001C
	ds_read_b128 a[132:135], v29 offset:7168                   // 000000006E20: DBFE1C00 8400001D
	ds_read_b128 a[136:139], v28 offset:8192                   // 000000006E28: DBFE2000 8800001C
	ds_read_b128 a[140:143], v29 offset:8192                   // 000000006E30: DBFE2000 8C00001D
	s_branch label_5CDC                                        // 000000006E38: BF8204A8

0000000000006e3c <label_4A3C>:
	s_mov_b32 s56, 64                                          // 000000006E3C: BEB800C0
	s_mul_i32 s83, s56, s71                                    // 000000006E40: 92534738
	s_cmp_le_i32 s83, s82                                      // 000000006E44: BF055253
	s_cbranch_scc1 label_4C18                                  // 000000006E48: BF850073
	v_and_b32_e32 v35, 31, v0                                  // 000000006E4C: 2646009F
	v_lshrrev_b32_e32 v35, 3, v35                              // 000000006E50: 20464683
	v_add_u32_e32 v35, s82, v35                                // 000000006E54: 68464652
	s_and_b32 s56, 2, s7                                       // 000000006E58: 86380782
	s_lshl_b32 s56, s56, 1                                     // 000000006E5C: 8E388138
	v_add_u32_e32 v35, s56, v35                                // 000000006E60: 68464638
	s_sub_u32 s56, s83, 64                                     // 000000006E64: 80B8C053
	v_lshrrev_b32_e32 v204, 5, v0                              // 000000006E68: 21980085
	v_mul_i32_i24_e32 v204, 4, v204                            // 000000006E6C: 0D999884
	v_add_u32_e32 v204, s56, v204                              // 000000006E70: 69999838
	s_and_b32 s56, s7, 1                                       // 000000006E74: 86388107
	s_mov_b32 s57, 32                                          // 000000006E78: BEB900A0
	s_mul_i32 s56, s57, s56                                    // 000000006E7C: 92383839
	v_add_u32_e32 v204, s56, v204                              // 000000006E80: 69999838
	v_add_u32_e32 v205, 1, v204                                // 000000006E84: 699B9881
	v_add_u32_e32 v206, 2, v204                                // 000000006E88: 699D9882
	v_add_u32_e32 v207, 3, v204                                // 000000006E8C: 699F9883
	v_mov_b32_e32 v37, 0xff800000                              // 000000006E90: 7E4A02FF FF800000
	v_cmp_le_i32_e64 s[36:37], v204, v35                       // 000000006E98: D0C30024 000247CC
	s_nop 0                                                    // 000000006EA0: BF800000
	v_cndmask_b32_e64 v44, v37, v44, s[36:37]                  // 000000006EA4: D100002C 00925925
	v_add_u32_e32 v204, 8, v204                                // 000000006EAC: 69999888
	v_cmp_le_i32_e64 s[36:37], v205, v35                       // 000000006EB0: D0C30024 000247CD
	s_nop 0                                                    // 000000006EB8: BF800000
	v_cndmask_b32_e64 v45, v37, v45, s[36:37]                  // 000000006EBC: D100002D 00925B25
	v_add_u32_e32 v205, 8, v205                                // 000000006EC4: 699B9A88
	v_cmp_le_i32_e64 s[36:37], v206, v35                       // 000000006EC8: D0C30024 000247CE
	s_nop 0                                                    // 000000006ED0: BF800000
	v_cndmask_b32_e64 v46, v37, v46, s[36:37]                  // 000000006ED4: D100002E 00925D25
	v_add_u32_e32 v206, 8, v206                                // 000000006EDC: 699D9C88
	v_cmp_le_i32_e64 s[36:37], v207, v35                       // 000000006EE0: D0C30024 000247CF
	s_nop 0                                                    // 000000006EE8: BF800000
	v_cndmask_b32_e64 v47, v37, v47, s[36:37]                  // 000000006EEC: D100002F 00925F25
	v_add_u32_e32 v207, 8, v207                                // 000000006EF4: 699F9E88
	v_cmp_le_i32_e64 s[36:37], v204, v35                       // 000000006EF8: D0C30024 000247CC
	s_nop 0                                                    // 000000006F00: BF800000
	v_cndmask_b32_e64 v48, v37, v48, s[36:37]                  // 000000006F04: D1000030 00926125
	v_add_u32_e32 v204, 8, v204                                // 000000006F0C: 69999888
	v_cmp_le_i32_e64 s[36:37], v205, v35                       // 000000006F10: D0C30024 000247CD
	s_nop 0                                                    // 000000006F18: BF800000
	v_cndmask_b32_e64 v49, v37, v49, s[36:37]                  // 000000006F1C: D1000031 00926325
	v_add_u32_e32 v205, 8, v205                                // 000000006F24: 699B9A88
	v_cmp_le_i32_e64 s[36:37], v206, v35                       // 000000006F28: D0C30024 000247CE
	s_nop 0                                                    // 000000006F30: BF800000
	v_cndmask_b32_e64 v50, v37, v50, s[36:37]                  // 000000006F34: D1000032 00926525
	v_add_u32_e32 v206, 8, v206                                // 000000006F3C: 699D9C88
	v_cmp_le_i32_e64 s[36:37], v207, v35                       // 000000006F40: D0C30024 000247CF
	s_nop 0                                                    // 000000006F48: BF800000
	v_cndmask_b32_e64 v51, v37, v51, s[36:37]                  // 000000006F4C: D1000033 00926725
	v_add_u32_e32 v207, 8, v207                                // 000000006F54: 699F9E88
	v_cmp_le_i32_e64 s[36:37], v204, v35                       // 000000006F58: D0C30024 000247CC
	s_nop 0                                                    // 000000006F60: BF800000
	v_cndmask_b32_e64 v52, v37, v52, s[36:37]                  // 000000006F64: D1000034 00926925
	v_add_u32_e32 v204, 8, v204                                // 000000006F6C: 69999888
	v_cmp_le_i32_e64 s[36:37], v205, v35                       // 000000006F70: D0C30024 000247CD
	s_nop 0                                                    // 000000006F78: BF800000
	v_cndmask_b32_e64 v53, v37, v53, s[36:37]                  // 000000006F7C: D1000035 00926B25
	v_add_u32_e32 v205, 8, v205                                // 000000006F84: 699B9A88
	v_cmp_le_i32_e64 s[36:37], v206, v35                       // 000000006F88: D0C30024 000247CE
	s_nop 0                                                    // 000000006F90: BF800000
	v_cndmask_b32_e64 v54, v37, v54, s[36:37]                  // 000000006F94: D1000036 00926D25
	v_add_u32_e32 v206, 8, v206                                // 000000006F9C: 699D9C88
	v_cmp_le_i32_e64 s[36:37], v207, v35                       // 000000006FA0: D0C30024 000247CF
	s_nop 0                                                    // 000000006FA8: BF800000
	v_cndmask_b32_e64 v55, v37, v55, s[36:37]                  // 000000006FAC: D1000037 00926F25
	v_add_u32_e32 v207, 8, v207                                // 000000006FB4: 699F9E88
	v_cmp_le_i32_e64 s[36:37], v204, v35                       // 000000006FB8: D0C30024 000247CC
	s_nop 0                                                    // 000000006FC0: BF800000
	v_cndmask_b32_e64 v56, v37, v56, s[36:37]                  // 000000006FC4: D1000038 00927125
	v_add_u32_e32 v204, 8, v204                                // 000000006FCC: 69999888
	v_cmp_le_i32_e64 s[36:37], v205, v35                       // 000000006FD0: D0C30024 000247CD
	s_nop 0                                                    // 000000006FD8: BF800000
	v_cndmask_b32_e64 v57, v37, v57, s[36:37]                  // 000000006FDC: D1000039 00927325
	v_add_u32_e32 v205, 8, v205                                // 000000006FE4: 699B9A88
	v_cmp_le_i32_e64 s[36:37], v206, v35                       // 000000006FE8: D0C30024 000247CE
	s_nop 0                                                    // 000000006FF0: BF800000
	v_cndmask_b32_e64 v58, v37, v58, s[36:37]                  // 000000006FF4: D100003A 00927525
	v_add_u32_e32 v206, 8, v206                                // 000000006FFC: 699D9C88
	v_cmp_le_i32_e64 s[36:37], v207, v35                       // 000000007000: D0C30024 000247CF
	s_nop 0                                                    // 000000007008: BF800000
	v_cndmask_b32_e64 v59, v37, v59, s[36:37]                  // 00000000700C: D100003B 00927725
	v_add_u32_e32 v207, 8, v207                                // 000000007014: 699F9E88

0000000000007018 <label_4C18>:
	s_add_u32 s83, s84, s83                                    // 000000007018: 80535354
	s_nop 2                                                    // 00000000701C: BF800002
	v_mov_b32_e32 v213, v44                                    // 000000007020: 7FAA032C
	v_max3_f32 v213, v44, v45, v213                            // 000000007024: D1D300D5 07565B2C
	v_max3_f32 v213, v46, v47, v213                            // 00000000702C: D1D300D5 07565F2E
	v_max3_f32 v213, v48, v49, v213                            // 000000007034: D1D300D5 07566330
	v_max3_f32 v213, v50, v51, v213                            // 00000000703C: D1D300D5 07566732
	v_max3_f32 v213, v52, v53, v213                            // 000000007044: D1D300D5 07566B34
	v_max3_f32 v213, v54, v55, v213                            // 00000000704C: D1D300D5 07566F36
	v_max3_f32 v213, v56, v57, v213                            // 000000007054: D1D300D5 07567338
	v_max3_f32 v213, v58, v59, v213                            // 00000000705C: D1D300D5 0756773A
	v_mov_b32_e32 v35, v213                                    // 000000007064: 7E4603D5
	v_mov_b32_e32 v36, v213                                    // 000000007068: 7E4803D5
	s_nop 1                                                    // 00000000706C: BF800001
	v_permlane32_swap_b32_e32 v35, v36                         // 000000007070: 7E46B524
	v_max3_f32 v213, v35, v36, v213                            // 000000007074: D1D300D5 07564923
	ds_write_b32 v41, v213                                     // 00000000707C: D81A0000 0000D529
	s_waitcnt lgkmcnt(0)                                       // 000000007084: BF8CC07F
	s_barrier                                                  // 000000007088: BF8A0000
	ds_read_b32 v35, v40                                       // 00000000708C: D86C0000 23000028
	ds_read_b32 v36, v40 offset:256                            // 000000007094: D86C0100 24000028
	s_waitcnt lgkmcnt(0)                                       // 00000000709C: BF8CC07F
	v_max3_f32 v213, v35, v36, v213                            // 0000000070A0: D1D300D5 07564923
	v_mov_b32_e32 v35, 0xff800000                              // 0000000070A8: 7E4602FF FF800000
	v_cmp_eq_u32_e64 s[36:37], v35, v2                         // 0000000070B0: D0CA0024 00020523
	v_max_f32_e32 v216, v213, v2                               // 0000000070B8: 17B005D5
	v_sub_f32_e32 v21, v2, v216                                // 0000000070BC: 042BB102
	v_cndmask_b32_e64 v21, v21, 0, s[36:37]                    // 0000000070C0: D1000015 00910115
	v_mov_b32_e32 v2, v216                                     // 0000000070C8: 7E0403D8
	v_mul_f32_e32 v212, s5, v216                               // 0000000070CC: 0BA9B005
	v_mul_f32_e32 v21, s5, v21                                 // 0000000070D0: 0A2A2A05
	v_exp_f32_e32 v21, v21                                     // 0000000070D4: 7E2A4115
	v_fma_f32 v44, v44, s5, -v212                              // 0000000070D8: D1CB002C 87500B2C
	v_fma_f32 v45, v45, s5, -v212                              // 0000000070E0: D1CB002D 87500B2D
	v_fma_f32 v46, v46, s5, -v212                              // 0000000070E8: D1CB002E 87500B2E
	v_fma_f32 v47, v47, s5, -v212                              // 0000000070F0: D1CB002F 87500B2F
	v_fma_f32 v48, v48, s5, -v212                              // 0000000070F8: D1CB0030 87500B30
	v_fma_f32 v49, v49, s5, -v212                              // 000000007100: D1CB0031 87500B31
	v_fma_f32 v50, v50, s5, -v212                              // 000000007108: D1CB0032 87500B32
	v_fma_f32 v51, v51, s5, -v212                              // 000000007110: D1CB0033 87500B33
	v_fma_f32 v52, v52, s5, -v212                              // 000000007118: D1CB0034 87500B34
	v_fma_f32 v53, v53, s5, -v212                              // 000000007120: D1CB0035 87500B35
	v_fma_f32 v54, v54, s5, -v212                              // 000000007128: D1CB0036 87500B36
	v_fma_f32 v55, v55, s5, -v212                              // 000000007130: D1CB0037 87500B37
	v_fma_f32 v56, v56, s5, -v212                              // 000000007138: D1CB0038 87500B38
	v_fma_f32 v57, v57, s5, -v212                              // 000000007140: D1CB0039 87500B39
	v_fma_f32 v58, v58, s5, -v212                              // 000000007148: D1CB003A 87500B3A
	v_fma_f32 v59, v59, s5, -v212                              // 000000007150: D1CB003B 87500B3B
	v_mov_b32_e32 v35, 0xffc00000                              // 000000007158: 7E4602FF FFC00000
	v_exp_f32_e32 v44, v44                                     // 000000007160: 7E58412C
	v_exp_f32_e32 v45, v45                                     // 000000007164: 7E5A412D
	v_exp_f32_e32 v46, v46                                     // 000000007168: 7E5C412E
	v_exp_f32_e32 v47, v47                                     // 00000000716C: 7E5E412F
	v_exp_f32_e32 v48, v48                                     // 000000007170: 7E604130
	v_exp_f32_e32 v49, v49                                     // 000000007174: 7E624131
	v_exp_f32_e32 v50, v50                                     // 000000007178: 7E644132
	v_exp_f32_e32 v51, v51                                     // 00000000717C: 7E664133
	v_exp_f32_e32 v52, v52                                     // 000000007180: 7E684134
	v_exp_f32_e32 v53, v53                                     // 000000007184: 7E6A4135
	v_exp_f32_e32 v54, v54                                     // 000000007188: 7E6C4136
	v_exp_f32_e32 v55, v55                                     // 00000000718C: 7E6E4137
	v_exp_f32_e32 v56, v56                                     // 000000007190: 7E704138
	v_exp_f32_e32 v57, v57                                     // 000000007194: 7E724139
	v_exp_f32_e32 v58, v58                                     // 000000007198: 7E74413A
	v_exp_f32_e32 v59, v59                                     // 00000000719C: 7E76413B
	v_mul_f32_e32 v4, v21, v4                                  // 0000000071A0: 0A080915
	v_mov_b32_e32 v35, v44                                     // 0000000071A4: 7E46032C
	v_add_f32_e32 v35, v45, v35                                // 0000000071A8: 0246472D
	v_add_f32_e32 v35, v46, v35                                // 0000000071AC: 0246472E
	v_add_f32_e32 v35, v47, v35                                // 0000000071B0: 0246472F
	v_add_f32_e32 v35, v48, v35                                // 0000000071B4: 02464730
	v_add_f32_e32 v35, v49, v35                                // 0000000071B8: 02464731
	v_add_f32_e32 v35, v50, v35                                // 0000000071BC: 02464732
	v_add_f32_e32 v35, v51, v35                                // 0000000071C0: 02464733
	v_add_f32_e32 v35, v52, v35                                // 0000000071C4: 02464734
	v_add_f32_e32 v35, v53, v35                                // 0000000071C8: 02464735
	v_add_f32_e32 v35, v54, v35                                // 0000000071CC: 02464736
	v_add_f32_e32 v35, v55, v35                                // 0000000071D0: 02464737
	v_add_f32_e32 v35, v56, v35                                // 0000000071D4: 02464738
	v_add_f32_e32 v35, v57, v35                                // 0000000071D8: 02464739
	v_add_f32_e32 v35, v58, v35                                // 0000000071DC: 0246473A
	v_add_f32_e32 v35, v59, v35                                // 0000000071E0: 0246473B
	v_add_f32_e32 v4, v35, v4                                  // 0000000071E4: 02080923
	v_cvt_pk_fp8_f32 v44, v44, v45                             // 0000000071E8: D2A2002C 00025B2C
	v_cvt_pk_fp8_f32 v44, v46, v47 op_sel:[0,0,1]              // 0000000071F0: D2A2402C 00025F2E
	v_cvt_pk_fp8_f32 v45, v48, v49                             // 0000000071F8: D2A2002D 00026330
	v_cvt_pk_fp8_f32 v45, v50, v51 op_sel:[0,0,1]              // 000000007200: D2A2402D 00026732
	v_cvt_pk_fp8_f32 v46, v52, v53                             // 000000007208: D2A2002E 00026B34
	v_cvt_pk_fp8_f32 v46, v54, v55 op_sel:[0,0,1]              // 000000007210: D2A2402E 00026F36
	v_cvt_pk_fp8_f32 v47, v56, v57                             // 000000007218: D2A2002F 00027338
	v_cvt_pk_fp8_f32 v47, v58, v59 op_sel:[0,0,1]              // 000000007220: D2A2402F 0002773A
	ds_write_b128 v43, v[44:47] offset:1024                    // 000000007228: D9BE0400 00002C2B
	s_waitcnt lgkmcnt(0)                                       // 000000007230: BF8CC07F
	s_barrier                                                  // 000000007234: BF8A0000
	ds_read_b128 v[44:47], v42 offset:1024                     // 000000007238: D9FE0400 2C00002A
	ds_read_b128 v[48:51], v42 offset:2048                     // 000000007240: D9FE0800 3000002A
	s_waitcnt lgkmcnt(0)                                       // 000000007248: BF8CC07F
	v_permlane32_swap_b32_e32 v44, v46                         // 00000000724C: 7E58B52E
	v_permlane32_swap_b32_e32 v45, v47                         // 000000007250: 7E5AB52F
	v_swap_b32 v45, v46                                        // 000000007254: 7E5AA32E
	v_permlane32_swap_b32_e32 v48, v50                         // 000000007258: 7E60B532
	v_permlane32_swap_b32_e32 v49, v51                         // 00000000725C: 7E62B533
	v_swap_b32 v49, v50                                        // 000000007260: 7E62A332
	ds_read_b64_tr_b8 a[72:73], v13                            // 000000007264: DBC40000 4800000D
	ds_read_b64_tr_b8 a[74:75], v14                            // 00000000726C: DBC40000 4A00000E
	ds_read_b64_tr_b8 a[76:77], v13 offset:18432               // 000000007274: DBC44800 4C00000D
	ds_read_b64_tr_b8 a[78:79], v14 offset:18432               // 00000000727C: DBC44800 4E00000E
	ds_read_b64_tr_b8 a[80:81], v15                            // 000000007284: DBC40000 5000000F
	ds_read_b64_tr_b8 a[82:83], v16                            // 00000000728C: DBC40000 52000010
	ds_read_b64_tr_b8 a[84:85], v15 offset:18432               // 000000007294: DBC44800 5400000F
	ds_read_b64_tr_b8 a[86:87], v16 offset:18432               // 00000000729C: DBC44800 56000010
	ds_read_b64_tr_b8 a[88:89], v13 offset:1024                // 0000000072A4: DBC40400 5800000D
	ds_read_b64_tr_b8 a[90:91], v14 offset:1024                // 0000000072AC: DBC40400 5A00000E
	ds_read_b64_tr_b8 a[92:93], v13 offset:19456               // 0000000072B4: DBC44C00 5C00000D
	ds_read_b64_tr_b8 a[94:95], v14 offset:19456               // 0000000072BC: DBC44C00 5E00000E
	ds_read_b64_tr_b8 a[96:97], v15 offset:1024                // 0000000072C4: DBC40400 6000000F
	ds_read_b64_tr_b8 a[98:99], v16 offset:1024                // 0000000072CC: DBC40400 62000010
	ds_read_b64_tr_b8 a[100:101], v15 offset:19456             // 0000000072D4: DBC44C00 6400000F
	ds_read_b64_tr_b8 a[102:103], v16 offset:19456             // 0000000072DC: DBC44C00 66000010
	ds_read_b64_tr_b8 a[104:105], v13 offset:2048              // 0000000072E4: DBC40800 6800000D
	ds_read_b64_tr_b8 a[106:107], v14 offset:2048              // 0000000072EC: DBC40800 6A00000E
	ds_read_b64_tr_b8 a[108:109], v13 offset:20480             // 0000000072F4: DBC45000 6C00000D
	ds_read_b64_tr_b8 a[110:111], v14 offset:20480             // 0000000072FC: DBC45000 6E00000E
	ds_read_b64_tr_b8 a[112:113], v15 offset:2048              // 000000007304: DBC40800 7000000F
	ds_read_b64_tr_b8 a[114:115], v16 offset:2048              // 00000000730C: DBC40800 72000010
	ds_read_b64_tr_b8 a[116:117], v15 offset:20480             // 000000007314: DBC45000 7400000F
	ds_read_b64_tr_b8 a[118:119], v16 offset:20480             // 00000000731C: DBC45000 76000010
	ds_read_b64_tr_b8 a[120:121], v13 offset:3072              // 000000007324: DBC40C00 7800000D
	ds_read_b64_tr_b8 a[122:123], v14 offset:3072              // 00000000732C: DBC40C00 7A00000E
	ds_read_b64_tr_b8 a[124:125], v13 offset:21504             // 000000007334: DBC45400 7C00000D
	ds_read_b64_tr_b8 a[126:127], v14 offset:21504             // 00000000733C: DBC45400 7E00000E
	ds_read_b64_tr_b8 a[128:129], v15 offset:3072              // 000000007344: DBC40C00 8000000F
	ds_read_b64_tr_b8 a[130:131], v16 offset:3072              // 00000000734C: DBC40C00 82000010
	ds_read_b64_tr_b8 a[132:133], v15 offset:21504             // 000000007354: DBC45400 8400000F
	ds_read_b64_tr_b8 a[134:135], v16 offset:21504             // 00000000735C: DBC45400 86000010
	s_waitcnt lgkmcnt(4)                                       // 000000007364: BF8CC47F
	v_mfma_f32_32x32x64_f8f6f4 v[76:91], a[72:79], v[60:67], v[76:91]// 000000007368: D3AE004C 0D327948
	ds_read_b64_tr_b8 a[72:73], v17                            // 000000007370: DBC40000 48000011
	ds_read_b64_tr_b8 a[74:75], v18                            // 000000007378: DBC40000 4A000012
	ds_read_b64_tr_b8 a[76:77], v17 offset:18432               // 000000007380: DBC44800 4C000011
	ds_read_b64_tr_b8 a[78:79], v18 offset:18432               // 000000007388: DBC44800 4E000012
	v_mfma_f32_32x32x64_f8f6f4 v[92:107], a[80:87], v[60:67], v[92:107]// 000000007390: D3AE005C 0D727950
	ds_read_b64_tr_b8 a[80:81], v19                            // 000000007398: DBC40000 50000013
	ds_read_b64_tr_b8 a[82:83], v20                            // 0000000073A0: DBC40000 52000014
	ds_read_b64_tr_b8 a[84:85], v19 offset:18432               // 0000000073A8: DBC44800 54000013
	ds_read_b64_tr_b8 a[86:87], v20 offset:18432               // 0000000073B0: DBC44800 56000014
	v_mfma_f32_32x32x64_f8f6f4 v[108:123], a[88:95], v[60:67], v[108:123]// 0000000073B8: D3AE006C 0DB27958
	ds_read_b64_tr_b8 a[88:89], v17 offset:1024                // 0000000073C0: DBC40400 58000011
	ds_read_b64_tr_b8 a[90:91], v18 offset:1024                // 0000000073C8: DBC40400 5A000012
	ds_read_b64_tr_b8 a[92:93], v17 offset:19456               // 0000000073D0: DBC44C00 5C000011
	ds_read_b64_tr_b8 a[94:95], v18 offset:19456               // 0000000073D8: DBC44C00 5E000012
	v_mfma_f32_32x32x64_f8f6f4 v[124:139], a[96:103], v[60:67], v[124:139]// 0000000073E0: D3AE007C 0DF27960
	ds_read_b64_tr_b8 a[96:97], v19 offset:1024                // 0000000073E8: DBC40400 60000013
	ds_read_b64_tr_b8 a[98:99], v20 offset:1024                // 0000000073F0: DBC40400 62000014
	ds_read_b64_tr_b8 a[100:101], v19 offset:19456             // 0000000073F8: DBC44C00 64000013
	ds_read_b64_tr_b8 a[102:103], v20 offset:19456             // 000000007400: DBC44C00 66000014
	v_mfma_f32_32x32x64_f8f6f4 v[140:155], a[104:111], v[60:67], v[140:155]// 000000007408: D3AE008C 0E327968
	ds_read_b64_tr_b8 a[104:105], v17 offset:2048              // 000000007410: DBC40800 68000011
	ds_read_b64_tr_b8 a[106:107], v18 offset:2048              // 000000007418: DBC40800 6A000012
	ds_read_b64_tr_b8 a[108:109], v17 offset:20480             // 000000007420: DBC45000 6C000011
	ds_read_b64_tr_b8 a[110:111], v18 offset:20480             // 000000007428: DBC45000 6E000012
	v_mfma_f32_32x32x64_f8f6f4 v[156:171], a[112:119], v[60:67], v[156:171]// 000000007430: D3AE009C 0E727970
	ds_read_b64_tr_b8 a[112:113], v19 offset:2048              // 000000007438: DBC40800 70000013
	ds_read_b64_tr_b8 a[114:115], v20 offset:2048              // 000000007440: DBC40800 72000014
	ds_read_b64_tr_b8 a[116:117], v19 offset:20480             // 000000007448: DBC45000 74000013
	ds_read_b64_tr_b8 a[118:119], v20 offset:20480             // 000000007450: DBC45000 76000014
	v_mfma_f32_32x32x64_f8f6f4 v[172:187], a[120:127], v[60:67], v[172:187]// 000000007458: D3AE00AC 0EB27978
	ds_read_b64_tr_b8 a[120:121], v17 offset:3072              // 000000007460: DBC40C00 78000011
	ds_read_b64_tr_b8 a[122:123], v18 offset:3072              // 000000007468: DBC40C00 7A000012
	ds_read_b64_tr_b8 a[124:125], v17 offset:21504             // 000000007470: DBC45400 7C000011
	ds_read_b64_tr_b8 a[126:127], v18 offset:21504             // 000000007478: DBC45400 7E000012
	v_mfma_f32_32x32x64_f8f6f4 v[188:203], a[128:135], v[60:67], v[188:203]// 000000007480: D3AE00BC 0EF27980
	ds_read_b64_tr_b8 a[128:129], v19 offset:3072              // 000000007488: DBC40C00 80000013
	ds_read_b64_tr_b8 a[130:131], v20 offset:3072              // 000000007490: DBC40C00 82000014
	ds_read_b64_tr_b8 a[132:133], v19 offset:21504             // 000000007498: DBC45400 84000013
	ds_read_b64_tr_b8 a[134:135], v20 offset:21504             // 0000000074A0: DBC45400 86000014
	v_mov_b32_e32 v36, v21                                     // 0000000074A8: 7E480315
	v_mov_b32_e32 v37, v21                                     // 0000000074AC: 7E4A0315
	v_pk_mul_f32 v[76:77], v[36:37], v[76:77]                  // 0000000074B0: D3B1404C 18029924
	v_pk_mul_f32 v[78:79], v[36:37], v[78:79]                  // 0000000074B8: D3B1404E 18029D24
	v_pk_mul_f32 v[80:81], v[36:37], v[80:81]                  // 0000000074C0: D3B14050 1802A124
	v_pk_mul_f32 v[82:83], v[36:37], v[82:83]                  // 0000000074C8: D3B14052 1802A524
	v_pk_mul_f32 v[84:85], v[36:37], v[84:85]                  // 0000000074D0: D3B14054 1802A924
	v_pk_mul_f32 v[86:87], v[36:37], v[86:87]                  // 0000000074D8: D3B14056 1802AD24
	v_pk_mul_f32 v[88:89], v[36:37], v[88:89]                  // 0000000074E0: D3B14058 1802B124
	v_pk_mul_f32 v[90:91], v[36:37], v[90:91]                  // 0000000074E8: D3B1405A 1802B524
	v_pk_mul_f32 v[92:93], v[36:37], v[92:93]                  // 0000000074F0: D3B1405C 1802B924
	v_pk_mul_f32 v[94:95], v[36:37], v[94:95]                  // 0000000074F8: D3B1405E 1802BD24
	v_pk_mul_f32 v[96:97], v[36:37], v[96:97]                  // 000000007500: D3B14060 1802C124
	v_pk_mul_f32 v[98:99], v[36:37], v[98:99]                  // 000000007508: D3B14062 1802C524
	v_pk_mul_f32 v[100:101], v[36:37], v[100:101]              // 000000007510: D3B14064 1802C924
	v_pk_mul_f32 v[102:103], v[36:37], v[102:103]              // 000000007518: D3B14066 1802CD24
	v_pk_mul_f32 v[104:105], v[36:37], v[104:105]              // 000000007520: D3B14068 1802D124
	v_pk_mul_f32 v[106:107], v[36:37], v[106:107]              // 000000007528: D3B1406A 1802D524
	v_pk_mul_f32 v[108:109], v[36:37], v[108:109]              // 000000007530: D3B1406C 1802D924
	v_pk_mul_f32 v[110:111], v[36:37], v[110:111]              // 000000007538: D3B1406E 1802DD24
	v_pk_mul_f32 v[112:113], v[36:37], v[112:113]              // 000000007540: D3B14070 1802E124
	v_pk_mul_f32 v[114:115], v[36:37], v[114:115]              // 000000007548: D3B14072 1802E524
	v_pk_mul_f32 v[116:117], v[36:37], v[116:117]              // 000000007550: D3B14074 1802E924
	v_pk_mul_f32 v[118:119], v[36:37], v[118:119]              // 000000007558: D3B14076 1802ED24
	v_pk_mul_f32 v[120:121], v[36:37], v[120:121]              // 000000007560: D3B14078 1802F124
	v_pk_mul_f32 v[122:123], v[36:37], v[122:123]              // 000000007568: D3B1407A 1802F524
	v_pk_mul_f32 v[124:125], v[36:37], v[124:125]              // 000000007570: D3B1407C 1802F924
	v_pk_mul_f32 v[126:127], v[36:37], v[126:127]              // 000000007578: D3B1407E 1802FD24
	v_pk_mul_f32 v[128:129], v[36:37], v[128:129]              // 000000007580: D3B14080 18030124
	v_pk_mul_f32 v[130:131], v[36:37], v[130:131]              // 000000007588: D3B14082 18030524
	v_pk_mul_f32 v[132:133], v[36:37], v[132:133]              // 000000007590: D3B14084 18030924
	v_pk_mul_f32 v[134:135], v[36:37], v[134:135]              // 000000007598: D3B14086 18030D24
	v_pk_mul_f32 v[136:137], v[36:37], v[136:137]              // 0000000075A0: D3B14088 18031124
	v_pk_mul_f32 v[138:139], v[36:37], v[138:139]              // 0000000075A8: D3B1408A 18031524
	v_pk_mul_f32 v[140:141], v[36:37], v[140:141]              // 0000000075B0: D3B1408C 18031924
	v_pk_mul_f32 v[142:143], v[36:37], v[142:143]              // 0000000075B8: D3B1408E 18031D24
	v_pk_mul_f32 v[144:145], v[36:37], v[144:145]              // 0000000075C0: D3B14090 18032124
	v_pk_mul_f32 v[146:147], v[36:37], v[146:147]              // 0000000075C8: D3B14092 18032524
	v_pk_mul_f32 v[148:149], v[36:37], v[148:149]              // 0000000075D0: D3B14094 18032924
	v_pk_mul_f32 v[150:151], v[36:37], v[150:151]              // 0000000075D8: D3B14096 18032D24
	v_pk_mul_f32 v[152:153], v[36:37], v[152:153]              // 0000000075E0: D3B14098 18033124
	v_pk_mul_f32 v[154:155], v[36:37], v[154:155]              // 0000000075E8: D3B1409A 18033524
	v_pk_mul_f32 v[156:157], v[36:37], v[156:157]              // 0000000075F0: D3B1409C 18033924
	v_pk_mul_f32 v[158:159], v[36:37], v[158:159]              // 0000000075F8: D3B1409E 18033D24
	v_pk_mul_f32 v[160:161], v[36:37], v[160:161]              // 000000007600: D3B140A0 18034124
	v_pk_mul_f32 v[162:163], v[36:37], v[162:163]              // 000000007608: D3B140A2 18034524
	v_pk_mul_f32 v[164:165], v[36:37], v[164:165]              // 000000007610: D3B140A4 18034924
	v_pk_mul_f32 v[166:167], v[36:37], v[166:167]              // 000000007618: D3B140A6 18034D24
	v_pk_mul_f32 v[168:169], v[36:37], v[168:169]              // 000000007620: D3B140A8 18035124
	v_pk_mul_f32 v[170:171], v[36:37], v[170:171]              // 000000007628: D3B140AA 18035524
	v_pk_mul_f32 v[172:173], v[36:37], v[172:173]              // 000000007630: D3B140AC 18035924
	v_pk_mul_f32 v[174:175], v[36:37], v[174:175]              // 000000007638: D3B140AE 18035D24
	v_pk_mul_f32 v[176:177], v[36:37], v[176:177]              // 000000007640: D3B140B0 18036124
	v_pk_mul_f32 v[178:179], v[36:37], v[178:179]              // 000000007648: D3B140B2 18036524
	v_pk_mul_f32 v[180:181], v[36:37], v[180:181]              // 000000007650: D3B140B4 18036924
	v_pk_mul_f32 v[182:183], v[36:37], v[182:183]              // 000000007658: D3B140B6 18036D24
	v_pk_mul_f32 v[184:185], v[36:37], v[184:185]              // 000000007660: D3B140B8 18037124
	v_pk_mul_f32 v[186:187], v[36:37], v[186:187]              // 000000007668: D3B140BA 18037524
	v_pk_mul_f32 v[188:189], v[36:37], v[188:189]              // 000000007670: D3B140BC 18037924
	v_pk_mul_f32 v[190:191], v[36:37], v[190:191]              // 000000007678: D3B140BE 18037D24
	v_pk_mul_f32 v[192:193], v[36:37], v[192:193]              // 000000007680: D3B140C0 18038124
	v_pk_mul_f32 v[194:195], v[36:37], v[194:195]              // 000000007688: D3B140C2 18038524
	v_pk_mul_f32 v[196:197], v[36:37], v[196:197]              // 000000007690: D3B140C4 18038924
	v_pk_mul_f32 v[198:199], v[36:37], v[198:199]              // 000000007698: D3B140C6 18038D24
	v_pk_mul_f32 v[200:201], v[36:37], v[200:201]              // 0000000076A0: D3B140C8 18039124
	v_pk_mul_f32 v[202:203], v[36:37], v[202:203]              // 0000000076A8: D3B140CA 18039524
	s_waitcnt vmcnt(0)                                         // 0000000076B0: BF8C0F70
	s_barrier                                                  // 0000000076B4: BF8A0000
	v_mfma_f32_32x32x64_f8f6f4 v[76:91], a[72:79], v[44:51], v[76:91]// 0000000076B8: D3AE004C 0D325948
	ds_read_b128 a[72:75], v22                                 // 0000000076C0: DBFE0000 48000016
	ds_read_b128 a[76:79], v23                                 // 0000000076C8: DBFE0000 4C000017
	v_mfma_f32_32x32x64_f8f6f4 v[92:107], a[80:87], v[44:51], v[92:107]// 0000000076D0: D3AE005C 0D725950
	ds_read_b128 a[80:83], v22 offset:1024                     // 0000000076D8: DBFE0400 50000016
	ds_read_b128 a[84:87], v23 offset:1024                     // 0000000076E0: DBFE0400 54000017
	v_mfma_f32_32x32x64_f8f6f4 v[108:123], a[88:95], v[44:51], v[108:123]// 0000000076E8: D3AE006C 0DB25958
	ds_read_b128 a[88:91], v22 offset:2048                     // 0000000076F0: DBFE0800 58000016
	ds_read_b128 a[92:95], v23 offset:2048                     // 0000000076F8: DBFE0800 5C000017
	v_mfma_f32_32x32x64_f8f6f4 v[124:139], a[96:103], v[44:51], v[124:139]// 000000007700: D3AE007C 0DF25960
	ds_read_b128 a[96:99], v22 offset:3072                     // 000000007708: DBFE0C00 60000016
	ds_read_b128 a[100:103], v23 offset:3072                   // 000000007710: DBFE0C00 64000017
	v_mfma_f32_32x32x64_f8f6f4 v[140:155], a[104:111], v[44:51], v[140:155]// 000000007718: D3AE008C 0E325968
	ds_read_b128 a[104:107], v22 offset:4096                   // 000000007720: DBFE1000 68000016
	ds_read_b128 a[108:111], v23 offset:4096                   // 000000007728: DBFE1000 6C000017
	v_mfma_f32_32x32x64_f8f6f4 v[156:171], a[112:119], v[44:51], v[156:171]// 000000007730: D3AE009C 0E725970
	ds_read_b128 a[112:115], v22 offset:5120                   // 000000007738: DBFE1400 70000016
	ds_read_b128 a[116:119], v23 offset:5120                   // 000000007740: DBFE1400 74000017
	v_mfma_f32_32x32x64_f8f6f4 v[172:187], a[120:127], v[44:51], v[172:187]// 000000007748: D3AE00AC 0EB25978
	ds_read_b128 a[120:123], v22 offset:6144                   // 000000007750: DBFE1800 78000016
	ds_read_b128 a[124:127], v23 offset:6144                   // 000000007758: DBFE1800 7C000017
	v_mfma_f32_32x32x64_f8f6f4 v[188:203], a[128:135], v[44:51], v[188:203]// 000000007760: D3AE00BC 0EF25980
	ds_read_b128 a[128:131], v22 offset:7168                   // 000000007768: DBFE1C00 80000016
	ds_read_b128 a[132:135], v23 offset:7168                   // 000000007770: DBFE1C00 84000017
	ds_read_b128 a[136:139], v22 offset:8192                   // 000000007778: DBFE2000 88000016
	ds_read_b128 a[140:143], v23 offset:8192                   // 000000007780: DBFE2000 8C000017
	s_branch label_5CDC                                        // 000000007788: BF820254

000000000000778c <label_538C>:
	s_mov_b32 s56, 64                                          // 00000000778C: BEB800C0
	s_mul_i32 s83, s56, s71                                    // 000000007790: 92534738
	s_cmp_le_i32 s83, s82                                      // 000000007794: BF055253
	s_cbranch_scc1 label_5568                                  // 000000007798: BF850073
	v_and_b32_e32 v35, 31, v0                                  // 00000000779C: 2646009F
	v_lshrrev_b32_e32 v35, 3, v35                              // 0000000077A0: 20464683
	v_add_u32_e32 v35, s82, v35                                // 0000000077A4: 68464652
	s_and_b32 s56, 2, s7                                       // 0000000077A8: 86380782
	s_lshl_b32 s56, s56, 1                                     // 0000000077AC: 8E388138
	v_add_u32_e32 v35, s56, v35                                // 0000000077B0: 68464638
	s_sub_u32 s56, s83, 64                                     // 0000000077B4: 80B8C053
	v_lshrrev_b32_e32 v204, 5, v0                              // 0000000077B8: 21980085
	v_mul_i32_i24_e32 v204, 4, v204                            // 0000000077BC: 0D999884
	v_add_u32_e32 v204, s56, v204                              // 0000000077C0: 69999838
	s_and_b32 s56, s7, 1                                       // 0000000077C4: 86388107
	s_mov_b32 s57, 32                                          // 0000000077C8: BEB900A0
	s_mul_i32 s56, s57, s56                                    // 0000000077CC: 92383839
	v_add_u32_e32 v204, s56, v204                              // 0000000077D0: 69999838
	v_add_u32_e32 v205, 1, v204                                // 0000000077D4: 699B9881
	v_add_u32_e32 v206, 2, v204                                // 0000000077D8: 699D9882
	v_add_u32_e32 v207, 3, v204                                // 0000000077DC: 699F9883
	v_mov_b32_e32 v37, 0xff800000                              // 0000000077E0: 7E4A02FF FF800000
	v_cmp_le_i32_e64 s[36:37], v204, v35                       // 0000000077E8: D0C30024 000247CC
	s_nop 0                                                    // 0000000077F0: BF800000
	v_cndmask_b32_e64 v60, v37, v60, s[36:37]                  // 0000000077F4: D100003C 00927925
	v_add_u32_e32 v204, 8, v204                                // 0000000077FC: 69999888
	v_cmp_le_i32_e64 s[36:37], v205, v35                       // 000000007800: D0C30024 000247CD
	s_nop 0                                                    // 000000007808: BF800000
	v_cndmask_b32_e64 v61, v37, v61, s[36:37]                  // 00000000780C: D100003D 00927B25
	v_add_u32_e32 v205, 8, v205                                // 000000007814: 699B9A88
	v_cmp_le_i32_e64 s[36:37], v206, v35                       // 000000007818: D0C30024 000247CE
	s_nop 0                                                    // 000000007820: BF800000
	v_cndmask_b32_e64 v62, v37, v62, s[36:37]                  // 000000007824: D100003E 00927D25
	v_add_u32_e32 v206, 8, v206                                // 00000000782C: 699D9C88
	v_cmp_le_i32_e64 s[36:37], v207, v35                       // 000000007830: D0C30024 000247CF
	s_nop 0                                                    // 000000007838: BF800000
	v_cndmask_b32_e64 v63, v37, v63, s[36:37]                  // 00000000783C: D100003F 00927F25
	v_add_u32_e32 v207, 8, v207                                // 000000007844: 699F9E88
	v_cmp_le_i32_e64 s[36:37], v204, v35                       // 000000007848: D0C30024 000247CC
	s_nop 0                                                    // 000000007850: BF800000
	v_cndmask_b32_e64 v64, v37, v64, s[36:37]                  // 000000007854: D1000040 00928125
	v_add_u32_e32 v204, 8, v204                                // 00000000785C: 69999888
	v_cmp_le_i32_e64 s[36:37], v205, v35                       // 000000007860: D0C30024 000247CD
	s_nop 0                                                    // 000000007868: BF800000
	v_cndmask_b32_e64 v65, v37, v65, s[36:37]                  // 00000000786C: D1000041 00928325
	v_add_u32_e32 v205, 8, v205                                // 000000007874: 699B9A88
	v_cmp_le_i32_e64 s[36:37], v206, v35                       // 000000007878: D0C30024 000247CE
	s_nop 0                                                    // 000000007880: BF800000
	v_cndmask_b32_e64 v66, v37, v66, s[36:37]                  // 000000007884: D1000042 00928525
	v_add_u32_e32 v206, 8, v206                                // 00000000788C: 699D9C88
	v_cmp_le_i32_e64 s[36:37], v207, v35                       // 000000007890: D0C30024 000247CF
	s_nop 0                                                    // 000000007898: BF800000
	v_cndmask_b32_e64 v67, v37, v67, s[36:37]                  // 00000000789C: D1000043 00928725
	v_add_u32_e32 v207, 8, v207                                // 0000000078A4: 699F9E88
	v_cmp_le_i32_e64 s[36:37], v204, v35                       // 0000000078A8: D0C30024 000247CC
	s_nop 0                                                    // 0000000078B0: BF800000
	v_cndmask_b32_e64 v68, v37, v68, s[36:37]                  // 0000000078B4: D1000044 00928925
	v_add_u32_e32 v204, 8, v204                                // 0000000078BC: 69999888
	v_cmp_le_i32_e64 s[36:37], v205, v35                       // 0000000078C0: D0C30024 000247CD
	s_nop 0                                                    // 0000000078C8: BF800000
	v_cndmask_b32_e64 v69, v37, v69, s[36:37]                  // 0000000078CC: D1000045 00928B25
	v_add_u32_e32 v205, 8, v205                                // 0000000078D4: 699B9A88
	v_cmp_le_i32_e64 s[36:37], v206, v35                       // 0000000078D8: D0C30024 000247CE
	s_nop 0                                                    // 0000000078E0: BF800000
	v_cndmask_b32_e64 v70, v37, v70, s[36:37]                  // 0000000078E4: D1000046 00928D25
	v_add_u32_e32 v206, 8, v206                                // 0000000078EC: 699D9C88
	v_cmp_le_i32_e64 s[36:37], v207, v35                       // 0000000078F0: D0C30024 000247CF
	s_nop 0                                                    // 0000000078F8: BF800000
	v_cndmask_b32_e64 v71, v37, v71, s[36:37]                  // 0000000078FC: D1000047 00928F25
	v_add_u32_e32 v207, 8, v207                                // 000000007904: 699F9E88
	v_cmp_le_i32_e64 s[36:37], v204, v35                       // 000000007908: D0C30024 000247CC
	s_nop 0                                                    // 000000007910: BF800000
	v_cndmask_b32_e64 v72, v37, v72, s[36:37]                  // 000000007914: D1000048 00929125
	v_add_u32_e32 v204, 8, v204                                // 00000000791C: 69999888
	v_cmp_le_i32_e64 s[36:37], v205, v35                       // 000000007920: D0C30024 000247CD
	s_nop 0                                                    // 000000007928: BF800000
	v_cndmask_b32_e64 v73, v37, v73, s[36:37]                  // 00000000792C: D1000049 00929325
	v_add_u32_e32 v205, 8, v205                                // 000000007934: 699B9A88
	v_cmp_le_i32_e64 s[36:37], v206, v35                       // 000000007938: D0C30024 000247CE
	s_nop 0                                                    // 000000007940: BF800000
	v_cndmask_b32_e64 v74, v37, v74, s[36:37]                  // 000000007944: D100004A 00929525
	v_add_u32_e32 v206, 8, v206                                // 00000000794C: 699D9C88
	v_cmp_le_i32_e64 s[36:37], v207, v35                       // 000000007950: D0C30024 000247CF
	s_nop 0                                                    // 000000007958: BF800000
	v_cndmask_b32_e64 v75, v37, v75, s[36:37]                  // 00000000795C: D100004B 00929725
	v_add_u32_e32 v207, 8, v207                                // 000000007964: 699F9E88

0000000000007968 <label_5568>:
	s_add_u32 s83, s84, s83                                    // 000000007968: 80535354
	s_nop 2                                                    // 00000000796C: BF800002
	v_mov_b32_e32 v213, v60                                    // 000000007970: 7FAA033C
	v_max3_f32 v213, v60, v61, v213                            // 000000007974: D1D300D5 07567B3C
	v_max3_f32 v213, v62, v63, v213                            // 00000000797C: D1D300D5 07567F3E
	v_max3_f32 v213, v64, v65, v213                            // 000000007984: D1D300D5 07568340
	v_max3_f32 v213, v66, v67, v213                            // 00000000798C: D1D300D5 07568742
	v_max3_f32 v213, v68, v69, v213                            // 000000007994: D1D300D5 07568B44
	v_max3_f32 v213, v70, v71, v213                            // 00000000799C: D1D300D5 07568F46
	v_max3_f32 v213, v72, v73, v213                            // 0000000079A4: D1D300D5 07569348
	v_max3_f32 v213, v74, v75, v213                            // 0000000079AC: D1D300D5 0756974A
	v_mov_b32_e32 v35, v213                                    // 0000000079B4: 7E4603D5
	v_mov_b32_e32 v36, v213                                    // 0000000079B8: 7E4803D5
	s_nop 1                                                    // 0000000079BC: BF800001
	v_permlane32_swap_b32_e32 v35, v36                         // 0000000079C0: 7E46B524
	v_max3_f32 v213, v35, v36, v213                            // 0000000079C4: D1D300D5 07564923
	ds_write_b32 v41, v213                                     // 0000000079CC: D81A0000 0000D529
	s_waitcnt lgkmcnt(0)                                       // 0000000079D4: BF8CC07F
	s_barrier                                                  // 0000000079D8: BF8A0000
	ds_read_b32 v35, v40                                       // 0000000079DC: D86C0000 23000028
	ds_read_b32 v36, v40 offset:256                            // 0000000079E4: D86C0100 24000028
	s_waitcnt lgkmcnt(0)                                       // 0000000079EC: BF8CC07F
	v_max3_f32 v213, v35, v36, v213                            // 0000000079F0: D1D300D5 07564923
	v_mov_b32_e32 v35, 0xff800000                              // 0000000079F8: 7E4602FF FF800000
	v_cmp_eq_u32_e64 s[36:37], v35, v2                         // 000000007A00: D0CA0024 00020523
	v_max_f32_e32 v216, v213, v2                               // 000000007A08: 17B005D5
	v_sub_f32_e32 v21, v2, v216                                // 000000007A0C: 042BB102
	v_cndmask_b32_e64 v21, v21, 0, s[36:37]                    // 000000007A10: D1000015 00910115
	v_mov_b32_e32 v2, v216                                     // 000000007A18: 7E0403D8
	v_mul_f32_e32 v212, s5, v216                               // 000000007A1C: 0BA9B005
	v_mul_f32_e32 v21, s5, v21                                 // 000000007A20: 0A2A2A05
	v_exp_f32_e32 v21, v21                                     // 000000007A24: 7E2A4115
	v_fma_f32 v60, v60, s5, -v212                              // 000000007A28: D1CB003C 87500B3C
	v_fma_f32 v61, v61, s5, -v212                              // 000000007A30: D1CB003D 87500B3D
	v_fma_f32 v62, v62, s5, -v212                              // 000000007A38: D1CB003E 87500B3E
	v_fma_f32 v63, v63, s5, -v212                              // 000000007A40: D1CB003F 87500B3F
	v_fma_f32 v64, v64, s5, -v212                              // 000000007A48: D1CB0040 87500B40
	v_fma_f32 v65, v65, s5, -v212                              // 000000007A50: D1CB0041 87500B41
	v_fma_f32 v66, v66, s5, -v212                              // 000000007A58: D1CB0042 87500B42
	v_fma_f32 v67, v67, s5, -v212                              // 000000007A60: D1CB0043 87500B43
	v_fma_f32 v68, v68, s5, -v212                              // 000000007A68: D1CB0044 87500B44
	v_fma_f32 v69, v69, s5, -v212                              // 000000007A70: D1CB0045 87500B45
	v_fma_f32 v70, v70, s5, -v212                              // 000000007A78: D1CB0046 87500B46
	v_fma_f32 v71, v71, s5, -v212                              // 000000007A80: D1CB0047 87500B47
	v_fma_f32 v72, v72, s5, -v212                              // 000000007A88: D1CB0048 87500B48
	v_fma_f32 v73, v73, s5, -v212                              // 000000007A90: D1CB0049 87500B49
	v_fma_f32 v74, v74, s5, -v212                              // 000000007A98: D1CB004A 87500B4A
	v_fma_f32 v75, v75, s5, -v212                              // 000000007AA0: D1CB004B 87500B4B
	v_mov_b32_e32 v35, 0xffc00000                              // 000000007AA8: 7E4602FF FFC00000
	v_exp_f32_e32 v60, v60                                     // 000000007AB0: 7E78413C
	v_exp_f32_e32 v61, v61                                     // 000000007AB4: 7E7A413D
	v_exp_f32_e32 v62, v62                                     // 000000007AB8: 7E7C413E
	v_exp_f32_e32 v63, v63                                     // 000000007ABC: 7E7E413F
	v_exp_f32_e32 v64, v64                                     // 000000007AC0: 7E804140
	v_exp_f32_e32 v65, v65                                     // 000000007AC4: 7E824141
	v_exp_f32_e32 v66, v66                                     // 000000007AC8: 7E844142
	v_exp_f32_e32 v67, v67                                     // 000000007ACC: 7E864143
	v_exp_f32_e32 v68, v68                                     // 000000007AD0: 7E884144
	v_exp_f32_e32 v69, v69                                     // 000000007AD4: 7E8A4145
	v_exp_f32_e32 v70, v70                                     // 000000007AD8: 7E8C4146
	v_exp_f32_e32 v71, v71                                     // 000000007ADC: 7E8E4147
	v_exp_f32_e32 v72, v72                                     // 000000007AE0: 7E904148
	v_exp_f32_e32 v73, v73                                     // 000000007AE4: 7E924149
	v_exp_f32_e32 v74, v74                                     // 000000007AE8: 7E94414A
	v_exp_f32_e32 v75, v75                                     // 000000007AEC: 7E96414B
	v_mul_f32_e32 v4, v21, v4                                  // 000000007AF0: 0A080915
	v_mov_b32_e32 v35, v60                                     // 000000007AF4: 7E46033C
	v_add_f32_e32 v35, v61, v35                                // 000000007AF8: 0246473D
	v_add_f32_e32 v35, v62, v35                                // 000000007AFC: 0246473E
	v_add_f32_e32 v35, v63, v35                                // 000000007B00: 0246473F
	v_add_f32_e32 v35, v64, v35                                // 000000007B04: 02464740
	v_add_f32_e32 v35, v65, v35                                // 000000007B08: 02464741
	v_add_f32_e32 v35, v66, v35                                // 000000007B0C: 02464742
	v_add_f32_e32 v35, v67, v35                                // 000000007B10: 02464743
	v_add_f32_e32 v35, v68, v35                                // 000000007B14: 02464744
	v_add_f32_e32 v35, v69, v35                                // 000000007B18: 02464745
	v_add_f32_e32 v35, v70, v35                                // 000000007B1C: 02464746
	v_add_f32_e32 v35, v71, v35                                // 000000007B20: 02464747
	v_add_f32_e32 v35, v72, v35                                // 000000007B24: 02464748
	v_add_f32_e32 v35, v73, v35                                // 000000007B28: 02464749
	v_add_f32_e32 v35, v74, v35                                // 000000007B2C: 0246474A
	v_add_f32_e32 v35, v75, v35                                // 000000007B30: 0246474B
	v_add_f32_e32 v4, v35, v4                                  // 000000007B34: 02080923
	v_cvt_pk_fp8_f32 v60, v60, v61                             // 000000007B38: D2A2003C 00027B3C
	v_cvt_pk_fp8_f32 v60, v62, v63 op_sel:[0,0,1]              // 000000007B40: D2A2403C 00027F3E
	v_cvt_pk_fp8_f32 v61, v64, v65                             // 000000007B48: D2A2003D 00028340
	v_cvt_pk_fp8_f32 v61, v66, v67 op_sel:[0,0,1]              // 000000007B50: D2A2403D 00028742
	v_cvt_pk_fp8_f32 v62, v68, v69                             // 000000007B58: D2A2003E 00028B44
	v_cvt_pk_fp8_f32 v62, v70, v71 op_sel:[0,0,1]              // 000000007B60: D2A2403E 00028F46
	v_cvt_pk_fp8_f32 v63, v72, v73                             // 000000007B68: D2A2003F 00029348
	v_cvt_pk_fp8_f32 v63, v74, v75 op_sel:[0,0,1]              // 000000007B70: D2A2403F 0002974A
	ds_write_b128 v43, v[60:63] offset:1024                    // 000000007B78: D9BE0400 00003C2B
	s_waitcnt lgkmcnt(0)                                       // 000000007B80: BF8CC07F
	s_barrier                                                  // 000000007B84: BF8A0000
	ds_read_b128 v[60:63], v42 offset:1024                     // 000000007B88: D9FE0400 3C00002A
	ds_read_b128 v[64:67], v42 offset:2048                     // 000000007B90: D9FE0800 4000002A
	s_waitcnt lgkmcnt(0)                                       // 000000007B98: BF8CC07F
	v_permlane32_swap_b32_e32 v60, v62                         // 000000007B9C: 7E78B53E
	v_permlane32_swap_b32_e32 v61, v63                         // 000000007BA0: 7E7AB53F
	v_swap_b32 v61, v62                                        // 000000007BA4: 7E7AA33E
	v_permlane32_swap_b32_e32 v64, v66                         // 000000007BA8: 7E80B542
	v_permlane32_swap_b32_e32 v65, v67                         // 000000007BAC: 7E82B543
	v_swap_b32 v65, v66                                        // 000000007BB0: 7E82A342
	ds_read_b64_tr_b8 a[72:73], v17                            // 000000007BB4: DBC40000 48000011
	ds_read_b64_tr_b8 a[74:75], v18                            // 000000007BBC: DBC40000 4A000012
	ds_read_b64_tr_b8 a[76:77], v17 offset:18432               // 000000007BC4: DBC44800 4C000011
	ds_read_b64_tr_b8 a[78:79], v18 offset:18432               // 000000007BCC: DBC44800 4E000012
	ds_read_b64_tr_b8 a[80:81], v19                            // 000000007BD4: DBC40000 50000013
	ds_read_b64_tr_b8 a[82:83], v20                            // 000000007BDC: DBC40000 52000014
	ds_read_b64_tr_b8 a[84:85], v19 offset:18432               // 000000007BE4: DBC44800 54000013
	ds_read_b64_tr_b8 a[86:87], v20 offset:18432               // 000000007BEC: DBC44800 56000014
	ds_read_b64_tr_b8 a[88:89], v17 offset:1024                // 000000007BF4: DBC40400 58000011
	ds_read_b64_tr_b8 a[90:91], v18 offset:1024                // 000000007BFC: DBC40400 5A000012
	ds_read_b64_tr_b8 a[92:93], v17 offset:19456               // 000000007C04: DBC44C00 5C000011
	ds_read_b64_tr_b8 a[94:95], v18 offset:19456               // 000000007C0C: DBC44C00 5E000012
	ds_read_b64_tr_b8 a[96:97], v19 offset:1024                // 000000007C14: DBC40400 60000013
	ds_read_b64_tr_b8 a[98:99], v20 offset:1024                // 000000007C1C: DBC40400 62000014
	ds_read_b64_tr_b8 a[100:101], v19 offset:19456             // 000000007C24: DBC44C00 64000013
	ds_read_b64_tr_b8 a[102:103], v20 offset:19456             // 000000007C2C: DBC44C00 66000014
	ds_read_b64_tr_b8 a[104:105], v17 offset:2048              // 000000007C34: DBC40800 68000011
	ds_read_b64_tr_b8 a[106:107], v18 offset:2048              // 000000007C3C: DBC40800 6A000012
	ds_read_b64_tr_b8 a[108:109], v17 offset:20480             // 000000007C44: DBC45000 6C000011
	ds_read_b64_tr_b8 a[110:111], v18 offset:20480             // 000000007C4C: DBC45000 6E000012
	ds_read_b64_tr_b8 a[112:113], v19 offset:2048              // 000000007C54: DBC40800 70000013
	ds_read_b64_tr_b8 a[114:115], v20 offset:2048              // 000000007C5C: DBC40800 72000014
	ds_read_b64_tr_b8 a[116:117], v19 offset:20480             // 000000007C64: DBC45000 74000013
	ds_read_b64_tr_b8 a[118:119], v20 offset:20480             // 000000007C6C: DBC45000 76000014
	ds_read_b64_tr_b8 a[120:121], v17 offset:3072              // 000000007C74: DBC40C00 78000011
	ds_read_b64_tr_b8 a[122:123], v18 offset:3072              // 000000007C7C: DBC40C00 7A000012
	ds_read_b64_tr_b8 a[124:125], v17 offset:21504             // 000000007C84: DBC45400 7C000011
	ds_read_b64_tr_b8 a[126:127], v18 offset:21504             // 000000007C8C: DBC45400 7E000012
	ds_read_b64_tr_b8 a[128:129], v19 offset:3072              // 000000007C94: DBC40C00 80000013
	ds_read_b64_tr_b8 a[130:131], v20 offset:3072              // 000000007C9C: DBC40C00 82000014
	ds_read_b64_tr_b8 a[132:133], v19 offset:21504             // 000000007CA4: DBC45400 84000013
	ds_read_b64_tr_b8 a[134:135], v20 offset:21504             // 000000007CAC: DBC45400 86000014
	s_waitcnt lgkmcnt(4)                                       // 000000007CB4: BF8CC47F
	v_mfma_f32_32x32x64_f8f6f4 v[76:91], a[72:79], v[44:51], v[76:91]// 000000007CB8: D3AE004C 0D325948
	ds_read_b64_tr_b8 a[72:73], v5                             // 000000007CC0: DBC40000 48000005
	ds_read_b64_tr_b8 a[74:75], v6                             // 000000007CC8: DBC40000 4A000006
	ds_read_b64_tr_b8 a[76:77], v5 offset:18432                // 000000007CD0: DBC44800 4C000005
	ds_read_b64_tr_b8 a[78:79], v6 offset:18432                // 000000007CD8: DBC44800 4E000006
	v_mfma_f32_32x32x64_f8f6f4 v[92:107], a[80:87], v[44:51], v[92:107]// 000000007CE0: D3AE005C 0D725950
	ds_read_b64_tr_b8 a[80:81], v7                             // 000000007CE8: DBC40000 50000007
	ds_read_b64_tr_b8 a[82:83], v8                             // 000000007CF0: DBC40000 52000008
	ds_read_b64_tr_b8 a[84:85], v7 offset:18432                // 000000007CF8: DBC44800 54000007
	ds_read_b64_tr_b8 a[86:87], v8 offset:18432                // 000000007D00: DBC44800 56000008
	v_mfma_f32_32x32x64_f8f6f4 v[108:123], a[88:95], v[44:51], v[108:123]// 000000007D08: D3AE006C 0DB25958
	ds_read_b64_tr_b8 a[88:89], v5 offset:1024                 // 000000007D10: DBC40400 58000005
	ds_read_b64_tr_b8 a[90:91], v6 offset:1024                 // 000000007D18: DBC40400 5A000006
	ds_read_b64_tr_b8 a[92:93], v5 offset:19456                // 000000007D20: DBC44C00 5C000005
	ds_read_b64_tr_b8 a[94:95], v6 offset:19456                // 000000007D28: DBC44C00 5E000006
	v_mfma_f32_32x32x64_f8f6f4 v[124:139], a[96:103], v[44:51], v[124:139]// 000000007D30: D3AE007C 0DF25960
	ds_read_b64_tr_b8 a[96:97], v7 offset:1024                 // 000000007D38: DBC40400 60000007
	ds_read_b64_tr_b8 a[98:99], v8 offset:1024                 // 000000007D40: DBC40400 62000008
	ds_read_b64_tr_b8 a[100:101], v7 offset:19456              // 000000007D48: DBC44C00 64000007
	ds_read_b64_tr_b8 a[102:103], v8 offset:19456              // 000000007D50: DBC44C00 66000008
	v_mfma_f32_32x32x64_f8f6f4 v[140:155], a[104:111], v[44:51], v[140:155]// 000000007D58: D3AE008C 0E325968
	ds_read_b64_tr_b8 a[104:105], v5 offset:2048               // 000000007D60: DBC40800 68000005
	ds_read_b64_tr_b8 a[106:107], v6 offset:2048               // 000000007D68: DBC40800 6A000006
	ds_read_b64_tr_b8 a[108:109], v5 offset:20480              // 000000007D70: DBC45000 6C000005
	ds_read_b64_tr_b8 a[110:111], v6 offset:20480              // 000000007D78: DBC45000 6E000006
	v_mfma_f32_32x32x64_f8f6f4 v[156:171], a[112:119], v[44:51], v[156:171]// 000000007D80: D3AE009C 0E725970
	ds_read_b64_tr_b8 a[112:113], v7 offset:2048               // 000000007D88: DBC40800 70000007
	ds_read_b64_tr_b8 a[114:115], v8 offset:2048               // 000000007D90: DBC40800 72000008
	ds_read_b64_tr_b8 a[116:117], v7 offset:20480              // 000000007D98: DBC45000 74000007
	ds_read_b64_tr_b8 a[118:119], v8 offset:20480              // 000000007DA0: DBC45000 76000008
	v_mfma_f32_32x32x64_f8f6f4 v[172:187], a[120:127], v[44:51], v[172:187]// 000000007DA8: D3AE00AC 0EB25978
	ds_read_b64_tr_b8 a[120:121], v5 offset:3072               // 000000007DB0: DBC40C00 78000005
	ds_read_b64_tr_b8 a[122:123], v6 offset:3072               // 000000007DB8: DBC40C00 7A000006
	ds_read_b64_tr_b8 a[124:125], v5 offset:21504              // 000000007DC0: DBC45400 7C000005
	ds_read_b64_tr_b8 a[126:127], v6 offset:21504              // 000000007DC8: DBC45400 7E000006
	v_mfma_f32_32x32x64_f8f6f4 v[188:203], a[128:135], v[44:51], v[188:203]// 000000007DD0: D3AE00BC 0EF25980
	ds_read_b64_tr_b8 a[128:129], v7 offset:3072               // 000000007DD8: DBC40C00 80000007
	ds_read_b64_tr_b8 a[130:131], v8 offset:3072               // 000000007DE0: DBC40C00 82000008
	ds_read_b64_tr_b8 a[132:133], v7 offset:21504              // 000000007DE8: DBC45400 84000007
	ds_read_b64_tr_b8 a[134:135], v8 offset:21504              // 000000007DF0: DBC45400 86000008
	v_mov_b32_e32 v36, v21                                     // 000000007DF8: 7E480315
	v_mov_b32_e32 v37, v21                                     // 000000007DFC: 7E4A0315
	v_pk_mul_f32 v[76:77], v[36:37], v[76:77]                  // 000000007E00: D3B1404C 18029924
	v_pk_mul_f32 v[78:79], v[36:37], v[78:79]                  // 000000007E08: D3B1404E 18029D24
	v_pk_mul_f32 v[80:81], v[36:37], v[80:81]                  // 000000007E10: D3B14050 1802A124
	v_pk_mul_f32 v[82:83], v[36:37], v[82:83]                  // 000000007E18: D3B14052 1802A524
	v_pk_mul_f32 v[84:85], v[36:37], v[84:85]                  // 000000007E20: D3B14054 1802A924
	v_pk_mul_f32 v[86:87], v[36:37], v[86:87]                  // 000000007E28: D3B14056 1802AD24
	v_pk_mul_f32 v[88:89], v[36:37], v[88:89]                  // 000000007E30: D3B14058 1802B124
	v_pk_mul_f32 v[90:91], v[36:37], v[90:91]                  // 000000007E38: D3B1405A 1802B524
	v_pk_mul_f32 v[92:93], v[36:37], v[92:93]                  // 000000007E40: D3B1405C 1802B924
	v_pk_mul_f32 v[94:95], v[36:37], v[94:95]                  // 000000007E48: D3B1405E 1802BD24
	v_pk_mul_f32 v[96:97], v[36:37], v[96:97]                  // 000000007E50: D3B14060 1802C124
	v_pk_mul_f32 v[98:99], v[36:37], v[98:99]                  // 000000007E58: D3B14062 1802C524
	v_pk_mul_f32 v[100:101], v[36:37], v[100:101]              // 000000007E60: D3B14064 1802C924
	v_pk_mul_f32 v[102:103], v[36:37], v[102:103]              // 000000007E68: D3B14066 1802CD24
	v_pk_mul_f32 v[104:105], v[36:37], v[104:105]              // 000000007E70: D3B14068 1802D124
	v_pk_mul_f32 v[106:107], v[36:37], v[106:107]              // 000000007E78: D3B1406A 1802D524
	v_pk_mul_f32 v[108:109], v[36:37], v[108:109]              // 000000007E80: D3B1406C 1802D924
	v_pk_mul_f32 v[110:111], v[36:37], v[110:111]              // 000000007E88: D3B1406E 1802DD24
	v_pk_mul_f32 v[112:113], v[36:37], v[112:113]              // 000000007E90: D3B14070 1802E124
	v_pk_mul_f32 v[114:115], v[36:37], v[114:115]              // 000000007E98: D3B14072 1802E524
	v_pk_mul_f32 v[116:117], v[36:37], v[116:117]              // 000000007EA0: D3B14074 1802E924
	v_pk_mul_f32 v[118:119], v[36:37], v[118:119]              // 000000007EA8: D3B14076 1802ED24
	v_pk_mul_f32 v[120:121], v[36:37], v[120:121]              // 000000007EB0: D3B14078 1802F124
	v_pk_mul_f32 v[122:123], v[36:37], v[122:123]              // 000000007EB8: D3B1407A 1802F524
	v_pk_mul_f32 v[124:125], v[36:37], v[124:125]              // 000000007EC0: D3B1407C 1802F924
	v_pk_mul_f32 v[126:127], v[36:37], v[126:127]              // 000000007EC8: D3B1407E 1802FD24
	v_pk_mul_f32 v[128:129], v[36:37], v[128:129]              // 000000007ED0: D3B14080 18030124
	v_pk_mul_f32 v[130:131], v[36:37], v[130:131]              // 000000007ED8: D3B14082 18030524
	v_pk_mul_f32 v[132:133], v[36:37], v[132:133]              // 000000007EE0: D3B14084 18030924
	v_pk_mul_f32 v[134:135], v[36:37], v[134:135]              // 000000007EE8: D3B14086 18030D24
	v_pk_mul_f32 v[136:137], v[36:37], v[136:137]              // 000000007EF0: D3B14088 18031124
	v_pk_mul_f32 v[138:139], v[36:37], v[138:139]              // 000000007EF8: D3B1408A 18031524
	v_pk_mul_f32 v[140:141], v[36:37], v[140:141]              // 000000007F00: D3B1408C 18031924
	v_pk_mul_f32 v[142:143], v[36:37], v[142:143]              // 000000007F08: D3B1408E 18031D24
	v_pk_mul_f32 v[144:145], v[36:37], v[144:145]              // 000000007F10: D3B14090 18032124
	v_pk_mul_f32 v[146:147], v[36:37], v[146:147]              // 000000007F18: D3B14092 18032524
	v_pk_mul_f32 v[148:149], v[36:37], v[148:149]              // 000000007F20: D3B14094 18032924
	v_pk_mul_f32 v[150:151], v[36:37], v[150:151]              // 000000007F28: D3B14096 18032D24
	v_pk_mul_f32 v[152:153], v[36:37], v[152:153]              // 000000007F30: D3B14098 18033124
	v_pk_mul_f32 v[154:155], v[36:37], v[154:155]              // 000000007F38: D3B1409A 18033524
	v_pk_mul_f32 v[156:157], v[36:37], v[156:157]              // 000000007F40: D3B1409C 18033924
	v_pk_mul_f32 v[158:159], v[36:37], v[158:159]              // 000000007F48: D3B1409E 18033D24
	v_pk_mul_f32 v[160:161], v[36:37], v[160:161]              // 000000007F50: D3B140A0 18034124
	v_pk_mul_f32 v[162:163], v[36:37], v[162:163]              // 000000007F58: D3B140A2 18034524
	v_pk_mul_f32 v[164:165], v[36:37], v[164:165]              // 000000007F60: D3B140A4 18034924
	v_pk_mul_f32 v[166:167], v[36:37], v[166:167]              // 000000007F68: D3B140A6 18034D24
	v_pk_mul_f32 v[168:169], v[36:37], v[168:169]              // 000000007F70: D3B140A8 18035124
	v_pk_mul_f32 v[170:171], v[36:37], v[170:171]              // 000000007F78: D3B140AA 18035524
	v_pk_mul_f32 v[172:173], v[36:37], v[172:173]              // 000000007F80: D3B140AC 18035924
	v_pk_mul_f32 v[174:175], v[36:37], v[174:175]              // 000000007F88: D3B140AE 18035D24
	v_pk_mul_f32 v[176:177], v[36:37], v[176:177]              // 000000007F90: D3B140B0 18036124
	v_pk_mul_f32 v[178:179], v[36:37], v[178:179]              // 000000007F98: D3B140B2 18036524
	v_pk_mul_f32 v[180:181], v[36:37], v[180:181]              // 000000007FA0: D3B140B4 18036924
	v_pk_mul_f32 v[182:183], v[36:37], v[182:183]              // 000000007FA8: D3B140B6 18036D24
	v_pk_mul_f32 v[184:185], v[36:37], v[184:185]              // 000000007FB0: D3B140B8 18037124
	v_pk_mul_f32 v[186:187], v[36:37], v[186:187]              // 000000007FB8: D3B140BA 18037524
	v_pk_mul_f32 v[188:189], v[36:37], v[188:189]              // 000000007FC0: D3B140BC 18037924
	v_pk_mul_f32 v[190:191], v[36:37], v[190:191]              // 000000007FC8: D3B140BE 18037D24
	v_pk_mul_f32 v[192:193], v[36:37], v[192:193]              // 000000007FD0: D3B140C0 18038124
	v_pk_mul_f32 v[194:195], v[36:37], v[194:195]              // 000000007FD8: D3B140C2 18038524
	v_pk_mul_f32 v[196:197], v[36:37], v[196:197]              // 000000007FE0: D3B140C4 18038924
	v_pk_mul_f32 v[198:199], v[36:37], v[198:199]              // 000000007FE8: D3B140C6 18038D24
	v_pk_mul_f32 v[200:201], v[36:37], v[200:201]              // 000000007FF0: D3B140C8 18039124
	v_pk_mul_f32 v[202:203], v[36:37], v[202:203]              // 000000007FF8: D3B140CA 18039524
	s_waitcnt vmcnt(0)                                         // 000000008000: BF8C0F70
	s_barrier                                                  // 000000008004: BF8A0000
	v_mfma_f32_32x32x64_f8f6f4 v[76:91], a[72:79], v[60:67], v[76:91]// 000000008008: D3AE004C 0D327948
	ds_read_b128 a[72:75], v24                                 // 000000008010: DBFE0000 48000018
	ds_read_b128 a[76:79], v25                                 // 000000008018: DBFE0000 4C000019
	v_mfma_f32_32x32x64_f8f6f4 v[92:107], a[80:87], v[60:67], v[92:107]// 000000008020: D3AE005C 0D727950
	ds_read_b128 a[80:83], v24 offset:1024                     // 000000008028: DBFE0400 50000018
	ds_read_b128 a[84:87], v25 offset:1024                     // 000000008030: DBFE0400 54000019
	v_mfma_f32_32x32x64_f8f6f4 v[108:123], a[88:95], v[60:67], v[108:123]// 000000008038: D3AE006C 0DB27958
	ds_read_b128 a[88:91], v24 offset:2048                     // 000000008040: DBFE0800 58000018
	ds_read_b128 a[92:95], v25 offset:2048                     // 000000008048: DBFE0800 5C000019
	v_mfma_f32_32x32x64_f8f6f4 v[124:139], a[96:103], v[60:67], v[124:139]// 000000008050: D3AE007C 0DF27960
	ds_read_b128 a[96:99], v24 offset:3072                     // 000000008058: DBFE0C00 60000018
	ds_read_b128 a[100:103], v25 offset:3072                   // 000000008060: DBFE0C00 64000019
	v_mfma_f32_32x32x64_f8f6f4 v[140:155], a[104:111], v[60:67], v[140:155]// 000000008068: D3AE008C 0E327968
	ds_read_b128 a[104:107], v24 offset:4096                   // 000000008070: DBFE1000 68000018
	ds_read_b128 a[108:111], v25 offset:4096                   // 000000008078: DBFE1000 6C000019
	v_mfma_f32_32x32x64_f8f6f4 v[156:171], a[112:119], v[60:67], v[156:171]// 000000008080: D3AE009C 0E727970
	ds_read_b128 a[112:115], v24 offset:5120                   // 000000008088: DBFE1400 70000018
	ds_read_b128 a[116:119], v25 offset:5120                   // 000000008090: DBFE1400 74000019
	v_mfma_f32_32x32x64_f8f6f4 v[172:187], a[120:127], v[60:67], v[172:187]// 000000008098: D3AE00AC 0EB27978
	ds_read_b128 a[120:123], v24 offset:6144                   // 0000000080A0: DBFE1800 78000018
	ds_read_b128 a[124:127], v25 offset:6144                   // 0000000080A8: DBFE1800 7C000019
	v_mfma_f32_32x32x64_f8f6f4 v[188:203], a[128:135], v[60:67], v[188:203]// 0000000080B0: D3AE00BC 0EF27980
	ds_read_b128 a[128:131], v24 offset:7168                   // 0000000080B8: DBFE1C00 80000018
	ds_read_b128 a[132:135], v25 offset:7168                   // 0000000080C0: DBFE1C00 84000019
	ds_read_b128 a[136:139], v24 offset:8192                   // 0000000080C8: DBFE2000 88000018
	ds_read_b128 a[140:143], v25 offset:8192                   // 0000000080D0: DBFE2000 8C000019
	s_branch label_5CDC                                        // 0000000080D8: BF820000

00000000000080dc <label_5CDC>:
	s_cmp_eq_i32 s48, 0                                        // 0000000080DC: BF008030
	s_cbranch_scc1 label_82C8                                  // 0000000080E0: BF850979

00000000000080e4 <label_5CE4>:
	s_and_b32 s56, 3, s71                                      // 0000000080E4: 86384783
	s_cmp_eq_i32 s56, 1                                        // 0000000080E8: BF008138
	s_cbranch_scc1 label_5D08                                  // 0000000080EC: BF850006
	s_cmp_eq_i32 s56, 2                                        // 0000000080F0: BF008238
	s_cbranch_scc1 label_6678                                  // 0000000080F4: BF850260
	s_cmp_eq_i32 s56, 3                                        // 0000000080F8: BF008338
	s_cbranch_scc1 label_6FE8                                  // 0000000080FC: BF8504BA
	s_cmp_eq_i32 s56, 0                                        // 000000008100: BF008038
	s_cbranch_scc1 label_7958                                  // 000000008104: BF850714

0000000000008108 <label_5D08>:
	s_waitcnt lgkmcnt(4)                                       // 000000008108: BF8CC47F
	v_mfma_f32_32x32x64_f8f6f4 v[60:75], a[72:79], a[0:7], 0   // 00000000810C: D3AE003C 1A020148
	v_mfma_f32_32x32x64_f8f6f4 v[60:75], a[80:87], a[8:15], v[60:75]// 000000008114: D3AE003C 1CF21150
	v_mfma_f32_32x32x64_f8f6f4 v[60:75], a[88:95], a[16:23], v[60:75]// 00000000811C: D3AE003C 1CF22158
	ds_read_b64_tr_b8 a[72:73], v13                            // 000000008124: DBC40000 4800000D
	ds_read_b64_tr_b8 a[74:75], v14                            // 00000000812C: DBC40000 4A00000E
	ds_read_b64_tr_b8 a[76:77], v13 offset:18432               // 000000008134: DBC44800 4C00000D
	ds_read_b64_tr_b8 a[78:79], v14 offset:18432               // 00000000813C: DBC44800 4E00000E
	v_mfma_f32_32x32x64_f8f6f4 v[60:75], a[96:103], a[24:31], v[60:75]// 000000008144: D3AE003C 1CF23160
	ds_read_b64_tr_b8 a[80:81], v15                            // 00000000814C: DBC40000 5000000F
	ds_read_b64_tr_b8 a[82:83], v16                            // 000000008154: DBC40000 52000010
	ds_read_b64_tr_b8 a[84:85], v15 offset:18432               // 00000000815C: DBC44800 5400000F
	ds_read_b64_tr_b8 a[86:87], v16 offset:18432               // 000000008164: DBC44800 56000010
	v_mfma_f32_32x32x64_f8f6f4 v[60:75], a[104:111], a[32:39], v[60:75]// 00000000816C: D3AE003C 1CF24168
	ds_read_b64_tr_b8 a[88:89], v13 offset:1024                // 000000008174: DBC40400 5800000D
	ds_read_b64_tr_b8 a[90:91], v14 offset:1024                // 00000000817C: DBC40400 5A00000E
	ds_read_b64_tr_b8 a[92:93], v13 offset:19456               // 000000008184: DBC44C00 5C00000D
	ds_read_b64_tr_b8 a[94:95], v14 offset:19456               // 00000000818C: DBC44C00 5E00000E
	v_mfma_f32_32x32x64_f8f6f4 v[60:75], a[112:119], a[40:47], v[60:75]// 000000008194: D3AE003C 1CF25170
	ds_read_b64_tr_b8 a[96:97], v15 offset:1024                // 00000000819C: DBC40400 6000000F
	ds_read_b64_tr_b8 a[98:99], v16 offset:1024                // 0000000081A4: DBC40400 62000010
	ds_read_b64_tr_b8 a[100:101], v15 offset:19456             // 0000000081AC: DBC44C00 6400000F
	ds_read_b64_tr_b8 a[102:103], v16 offset:19456             // 0000000081B4: DBC44C00 66000010
	v_mfma_f32_32x32x64_f8f6f4 v[60:75], a[120:127], a[48:55], v[60:75]// 0000000081BC: D3AE003C 1CF26178
	ds_read_b64_tr_b8 a[104:105], v13 offset:2048              // 0000000081C4: DBC40800 6800000D
	ds_read_b64_tr_b8 a[106:107], v14 offset:2048              // 0000000081CC: DBC40800 6A00000E
	ds_read_b64_tr_b8 a[108:109], v13 offset:20480             // 0000000081D4: DBC45000 6C00000D
	ds_read_b64_tr_b8 a[110:111], v14 offset:20480             // 0000000081DC: DBC45000 6E00000E
	v_mfma_f32_32x32x64_f8f6f4 v[60:75], a[128:135], a[56:63], v[60:75]// 0000000081E4: D3AE003C 1CF27180
	ds_read_b64_tr_b8 a[112:113], v15 offset:2048              // 0000000081EC: DBC40800 7000000F
	ds_read_b64_tr_b8 a[114:115], v16 offset:2048              // 0000000081F4: DBC40800 72000010
	ds_read_b64_tr_b8 a[116:117], v15 offset:20480             // 0000000081FC: DBC45000 7400000F
	ds_read_b64_tr_b8 a[118:119], v16 offset:20480             // 000000008204: DBC45000 76000010
	v_mfma_f32_32x32x64_f8f6f4 v[60:75], a[136:143], a[64:71], v[60:75]// 00000000820C: D3AE003C 1CF28188
	ds_read_b64_tr_b8 a[120:121], v13 offset:3072              // 000000008214: DBC40C00 7800000D
	ds_read_b64_tr_b8 a[122:123], v14 offset:3072              // 00000000821C: DBC40C00 7A00000E
	ds_read_b64_tr_b8 a[124:125], v13 offset:21504             // 000000008224: DBC45400 7C00000D
	ds_read_b64_tr_b8 a[126:127], v14 offset:21504             // 00000000822C: DBC45400 7E00000E
	ds_read_b64_tr_b8 a[128:129], v15 offset:3072              // 000000008234: DBC40C00 8000000F
	ds_read_b64_tr_b8 a[130:131], v16 offset:3072              // 00000000823C: DBC40C00 82000010
	ds_read_b64_tr_b8 a[132:133], v15 offset:21504             // 000000008244: DBC45400 8400000F
	ds_read_b64_tr_b8 a[134:135], v16 offset:21504             // 00000000824C: DBC45400 86000010
	s_cmp_le_i32 s83, s82                                      // 000000008254: BF055253
	s_cbranch_scc1 label_6028                                  // 000000008258: BF850073
	v_and_b32_e32 v35, 31, v0                                  // 00000000825C: 2646009F
	v_lshrrev_b32_e32 v35, 3, v35                              // 000000008260: 20464683
	v_add_u32_e32 v35, s82, v35                                // 000000008264: 68464652
	s_and_b32 s56, 2, s7                                       // 000000008268: 86380782
	s_lshl_b32 s56, s56, 1                                     // 00000000826C: 8E388138
	v_add_u32_e32 v35, s56, v35                                // 000000008270: 68464638
	s_sub_u32 s56, s83, 64                                     // 000000008274: 80B8C053
	v_lshrrev_b32_e32 v204, 5, v0                              // 000000008278: 21980085
	v_mul_i32_i24_e32 v204, 4, v204                            // 00000000827C: 0D999884
	v_add_u32_e32 v204, s56, v204                              // 000000008280: 69999838
	s_and_b32 s56, s7, 1                                       // 000000008284: 86388107
	s_mov_b32 s57, 32                                          // 000000008288: BEB900A0
	s_mul_i32 s56, s57, s56                                    // 00000000828C: 92383839
	v_add_u32_e32 v204, s56, v204                              // 000000008290: 69999838
	v_add_u32_e32 v205, 1, v204                                // 000000008294: 699B9881
	v_add_u32_e32 v206, 2, v204                                // 000000008298: 699D9882
	v_add_u32_e32 v207, 3, v204                                // 00000000829C: 699F9883
	v_mov_b32_e32 v37, 0xff800000                              // 0000000082A0: 7E4A02FF FF800000
	v_cmp_le_i32_e64 s[36:37], v204, v35                       // 0000000082A8: D0C30024 000247CC
	s_nop 0                                                    // 0000000082B0: BF800000
	v_cndmask_b32_e64 v60, v37, v60, s[36:37]                  // 0000000082B4: D100003C 00927925
	v_add_u32_e32 v204, 8, v204                                // 0000000082BC: 69999888
	v_cmp_le_i32_e64 s[36:37], v205, v35                       // 0000000082C0: D0C30024 000247CD
	s_nop 0                                                    // 0000000082C8: BF800000
	v_cndmask_b32_e64 v61, v37, v61, s[36:37]                  // 0000000082CC: D100003D 00927B25
	v_add_u32_e32 v205, 8, v205                                // 0000000082D4: 699B9A88
	v_cmp_le_i32_e64 s[36:37], v206, v35                       // 0000000082D8: D0C30024 000247CE
	s_nop 0                                                    // 0000000082E0: BF800000
	v_cndmask_b32_e64 v62, v37, v62, s[36:37]                  // 0000000082E4: D100003E 00927D25
	v_add_u32_e32 v206, 8, v206                                // 0000000082EC: 699D9C88
	v_cmp_le_i32_e64 s[36:37], v207, v35                       // 0000000082F0: D0C30024 000247CF
	s_nop 0                                                    // 0000000082F8: BF800000
	v_cndmask_b32_e64 v63, v37, v63, s[36:37]                  // 0000000082FC: D100003F 00927F25
	v_add_u32_e32 v207, 8, v207                                // 000000008304: 699F9E88
	v_cmp_le_i32_e64 s[36:37], v204, v35                       // 000000008308: D0C30024 000247CC
	s_nop 0                                                    // 000000008310: BF800000
	v_cndmask_b32_e64 v64, v37, v64, s[36:37]                  // 000000008314: D1000040 00928125
	v_add_u32_e32 v204, 8, v204                                // 00000000831C: 69999888
	v_cmp_le_i32_e64 s[36:37], v205, v35                       // 000000008320: D0C30024 000247CD
	s_nop 0                                                    // 000000008328: BF800000
	v_cndmask_b32_e64 v65, v37, v65, s[36:37]                  // 00000000832C: D1000041 00928325
	v_add_u32_e32 v205, 8, v205                                // 000000008334: 699B9A88
	v_cmp_le_i32_e64 s[36:37], v206, v35                       // 000000008338: D0C30024 000247CE
	s_nop 0                                                    // 000000008340: BF800000
	v_cndmask_b32_e64 v66, v37, v66, s[36:37]                  // 000000008344: D1000042 00928525
	v_add_u32_e32 v206, 8, v206                                // 00000000834C: 699D9C88
	v_cmp_le_i32_e64 s[36:37], v207, v35                       // 000000008350: D0C30024 000247CF
	s_nop 0                                                    // 000000008358: BF800000
	v_cndmask_b32_e64 v67, v37, v67, s[36:37]                  // 00000000835C: D1000043 00928725
	v_add_u32_e32 v207, 8, v207                                // 000000008364: 699F9E88
	v_cmp_le_i32_e64 s[36:37], v204, v35                       // 000000008368: D0C30024 000247CC
	s_nop 0                                                    // 000000008370: BF800000
	v_cndmask_b32_e64 v68, v37, v68, s[36:37]                  // 000000008374: D1000044 00928925
	v_add_u32_e32 v204, 8, v204                                // 00000000837C: 69999888
	v_cmp_le_i32_e64 s[36:37], v205, v35                       // 000000008380: D0C30024 000247CD
	s_nop 0                                                    // 000000008388: BF800000
	v_cndmask_b32_e64 v69, v37, v69, s[36:37]                  // 00000000838C: D1000045 00928B25
	v_add_u32_e32 v205, 8, v205                                // 000000008394: 699B9A88
	v_cmp_le_i32_e64 s[36:37], v206, v35                       // 000000008398: D0C30024 000247CE
	s_nop 0                                                    // 0000000083A0: BF800000
	v_cndmask_b32_e64 v70, v37, v70, s[36:37]                  // 0000000083A4: D1000046 00928D25
	v_add_u32_e32 v206, 8, v206                                // 0000000083AC: 699D9C88
	v_cmp_le_i32_e64 s[36:37], v207, v35                       // 0000000083B0: D0C30024 000247CF
	s_nop 0                                                    // 0000000083B8: BF800000
	v_cndmask_b32_e64 v71, v37, v71, s[36:37]                  // 0000000083BC: D1000047 00928F25
	v_add_u32_e32 v207, 8, v207                                // 0000000083C4: 699F9E88
	v_cmp_le_i32_e64 s[36:37], v204, v35                       // 0000000083C8: D0C30024 000247CC
	s_nop 0                                                    // 0000000083D0: BF800000
	v_cndmask_b32_e64 v72, v37, v72, s[36:37]                  // 0000000083D4: D1000048 00929125
	v_add_u32_e32 v204, 8, v204                                // 0000000083DC: 69999888
	v_cmp_le_i32_e64 s[36:37], v205, v35                       // 0000000083E0: D0C30024 000247CD
	s_nop 0                                                    // 0000000083E8: BF800000
	v_cndmask_b32_e64 v73, v37, v73, s[36:37]                  // 0000000083EC: D1000049 00929325
	v_add_u32_e32 v205, 8, v205                                // 0000000083F4: 699B9A88
	v_cmp_le_i32_e64 s[36:37], v206, v35                       // 0000000083F8: D0C30024 000247CE
	s_nop 0                                                    // 000000008400: BF800000
	v_cndmask_b32_e64 v74, v37, v74, s[36:37]                  // 000000008404: D100004A 00929525
	v_add_u32_e32 v206, 8, v206                                // 00000000840C: 699D9C88
	v_cmp_le_i32_e64 s[36:37], v207, v35                       // 000000008410: D0C30024 000247CF
	s_nop 0                                                    // 000000008418: BF800000
	v_cndmask_b32_e64 v75, v37, v75, s[36:37]                  // 00000000841C: D100004B 00929725
	v_add_u32_e32 v207, 8, v207                                // 000000008424: 699F9E88

0000000000008428 <label_6028>:
	s_and_b32 s56, s48, 0xff                                   // 000000008428: 8638FF30 000000FF
	v_mov_b32_e32 v36, s56                                     // 000000008430: 7E480238
	v_lshrrev_b32_e32 v204, 5, v0                              // 000000008434: 21980085
	v_mul_i32_i24_e32 v204, 4, v204                            // 000000008438: 0D999884
	s_and_b32 s56, s7, 1                                       // 00000000843C: 86388107
	s_mov_b32 s57, 32                                          // 000000008440: BEB900A0
	s_mul_i32 s56, s57, s56                                    // 000000008444: 92383839
	v_add_u32_e32 v204, s56, v204                              // 000000008448: 69999838
	v_add_u32_e32 v205, 1, v204                                // 00000000844C: 699B9881
	v_add_u32_e32 v206, 2, v204                                // 000000008450: 699D9882
	v_add_u32_e32 v207, 3, v204                                // 000000008454: 699F9883
	v_mov_b32_e32 v35, 0xff800000                              // 000000008458: 7E4602FF FF800000
	v_cmp_lt_u32_e64 s[36:37], v204, v36                       // 000000008460: D0C90024 000249CC
	v_add_u32_e32 v204, 8, v204                                // 000000008468: 69999888
	s_nop 0                                                    // 00000000846C: BF800000
	v_cndmask_b32_e64 v60, v35, v60, s[36:37]                  // 000000008470: D100003C 00927923
	v_cmp_lt_u32_e64 s[36:37], v205, v36                       // 000000008478: D0C90024 000249CD
	v_add_u32_e32 v205, 8, v205                                // 000000008480: 699B9A88
	s_nop 0                                                    // 000000008484: BF800000
	v_cndmask_b32_e64 v61, v35, v61, s[36:37]                  // 000000008488: D100003D 00927B23
	v_cmp_lt_u32_e64 s[36:37], v206, v36                       // 000000008490: D0C90024 000249CE
	v_add_u32_e32 v206, 8, v206                                // 000000008498: 699D9C88
	s_nop 0                                                    // 00000000849C: BF800000
	v_cndmask_b32_e64 v62, v35, v62, s[36:37]                  // 0000000084A0: D100003E 00927D23
	v_cmp_lt_u32_e64 s[36:37], v207, v36                       // 0000000084A8: D0C90024 000249CF
	v_add_u32_e32 v207, 8, v207                                // 0000000084B0: 699F9E88
	s_nop 0                                                    // 0000000084B4: BF800000
	v_cndmask_b32_e64 v63, v35, v63, s[36:37]                  // 0000000084B8: D100003F 00927F23
	v_cmp_lt_u32_e64 s[36:37], v204, v36                       // 0000000084C0: D0C90024 000249CC
	v_add_u32_e32 v204, 8, v204                                // 0000000084C8: 69999888
	s_nop 0                                                    // 0000000084CC: BF800000
	v_cndmask_b32_e64 v64, v35, v64, s[36:37]                  // 0000000084D0: D1000040 00928123
	v_cmp_lt_u32_e64 s[36:37], v205, v36                       // 0000000084D8: D0C90024 000249CD
	v_add_u32_e32 v205, 8, v205                                // 0000000084E0: 699B9A88
	s_nop 0                                                    // 0000000084E4: BF800000
	v_cndmask_b32_e64 v65, v35, v65, s[36:37]                  // 0000000084E8: D1000041 00928323
	v_cmp_lt_u32_e64 s[36:37], v206, v36                       // 0000000084F0: D0C90024 000249CE
	v_add_u32_e32 v206, 8, v206                                // 0000000084F8: 699D9C88
	s_nop 0                                                    // 0000000084FC: BF800000
	v_cndmask_b32_e64 v66, v35, v66, s[36:37]                  // 000000008500: D1000042 00928523
	v_cmp_lt_u32_e64 s[36:37], v207, v36                       // 000000008508: D0C90024 000249CF
	v_add_u32_e32 v207, 8, v207                                // 000000008510: 699F9E88
	s_nop 0                                                    // 000000008514: BF800000
	v_cndmask_b32_e64 v67, v35, v67, s[36:37]                  // 000000008518: D1000043 00928723
	v_cmp_lt_u32_e64 s[36:37], v204, v36                       // 000000008520: D0C90024 000249CC
	v_add_u32_e32 v204, 8, v204                                // 000000008528: 69999888
	s_nop 0                                                    // 00000000852C: BF800000
	v_cndmask_b32_e64 v68, v35, v68, s[36:37]                  // 000000008530: D1000044 00928923
	v_cmp_lt_u32_e64 s[36:37], v205, v36                       // 000000008538: D0C90024 000249CD
	v_add_u32_e32 v205, 8, v205                                // 000000008540: 699B9A88
	s_nop 0                                                    // 000000008544: BF800000
	v_cndmask_b32_e64 v69, v35, v69, s[36:37]                  // 000000008548: D1000045 00928B23
	v_cmp_lt_u32_e64 s[36:37], v206, v36                       // 000000008550: D0C90024 000249CE
	v_add_u32_e32 v206, 8, v206                                // 000000008558: 699D9C88
	s_nop 0                                                    // 00000000855C: BF800000
	v_cndmask_b32_e64 v70, v35, v70, s[36:37]                  // 000000008560: D1000046 00928D23
	v_cmp_lt_u32_e64 s[36:37], v207, v36                       // 000000008568: D0C90024 000249CF
	v_add_u32_e32 v207, 8, v207                                // 000000008570: 699F9E88
	s_nop 0                                                    // 000000008574: BF800000
	v_cndmask_b32_e64 v71, v35, v71, s[36:37]                  // 000000008578: D1000047 00928F23
	v_cmp_lt_u32_e64 s[36:37], v204, v36                       // 000000008580: D0C90024 000249CC
	v_add_u32_e32 v204, 8, v204                                // 000000008588: 69999888
	s_nop 0                                                    // 00000000858C: BF800000
	v_cndmask_b32_e64 v72, v35, v72, s[36:37]                  // 000000008590: D1000048 00929123
	v_cmp_lt_u32_e64 s[36:37], v205, v36                       // 000000008598: D0C90024 000249CD
	v_add_u32_e32 v205, 8, v205                                // 0000000085A0: 699B9A88
	s_nop 0                                                    // 0000000085A4: BF800000
	v_cndmask_b32_e64 v73, v35, v73, s[36:37]                  // 0000000085A8: D1000049 00929323
	v_cmp_lt_u32_e64 s[36:37], v206, v36                       // 0000000085B0: D0C90024 000249CE
	v_add_u32_e32 v206, 8, v206                                // 0000000085B8: 699D9C88
	s_nop 0                                                    // 0000000085BC: BF800000
	v_cndmask_b32_e64 v74, v35, v74, s[36:37]                  // 0000000085C0: D100004A 00929523
	v_cmp_lt_u32_e64 s[36:37], v207, v36                       // 0000000085C8: D0C90024 000249CF
	v_add_u32_e32 v207, 8, v207                                // 0000000085D0: 699F9E88
	s_nop 0                                                    // 0000000085D4: BF800000
	v_cndmask_b32_e64 v75, v35, v75, s[36:37]                  // 0000000085D8: D100004B 00929723
	s_nop 2                                                    // 0000000085E0: BF800002
	v_mov_b32_e32 v213, v60                                    // 0000000085E4: 7FAA033C
	v_max3_f32 v213, v60, v61, v213                            // 0000000085E8: D1D300D5 07567B3C
	v_max3_f32 v213, v62, v63, v213                            // 0000000085F0: D1D300D5 07567F3E
	v_max3_f32 v213, v64, v65, v213                            // 0000000085F8: D1D300D5 07568340
	v_max3_f32 v213, v66, v67, v213                            // 000000008600: D1D300D5 07568742
	v_max3_f32 v213, v68, v69, v213                            // 000000008608: D1D300D5 07568B44
	v_max3_f32 v213, v70, v71, v213                            // 000000008610: D1D300D5 07568F46
	v_max3_f32 v213, v72, v73, v213                            // 000000008618: D1D300D5 07569348
	v_max3_f32 v213, v74, v75, v213                            // 000000008620: D1D300D5 0756974A
	v_mov_b32_e32 v35, v213                                    // 000000008628: 7E4603D5
	v_mov_b32_e32 v36, v213                                    // 00000000862C: 7E4803D5
	s_nop 1                                                    // 000000008630: BF800001
	v_permlane32_swap_b32_e32 v35, v36                         // 000000008634: 7E46B524
	v_max3_f32 v213, v35, v36, v213                            // 000000008638: D1D300D5 07564923
	ds_write_b32 v41, v213                                     // 000000008640: D81A0000 0000D529
	s_waitcnt lgkmcnt(0)                                       // 000000008648: BF8CC07F
	s_barrier                                                  // 00000000864C: BF8A0000
	ds_read_b32 v35, v40                                       // 000000008650: D86C0000 23000028
	ds_read_b32 v36, v40 offset:256                            // 000000008658: D86C0100 24000028
	s_waitcnt lgkmcnt(0)                                       // 000000008660: BF8CC07F
	v_max3_f32 v213, v35, v36, v213                            // 000000008664: D1D300D5 07564923
	v_mov_b32_e32 v35, 0xff800000                              // 00000000866C: 7E4602FF FF800000
	v_cmp_eq_u32_e64 s[36:37], v35, v2                         // 000000008674: D0CA0024 00020523
	v_max_f32_e32 v216, v213, v2                               // 00000000867C: 17B005D5
	v_sub_f32_e32 v21, v2, v216                                // 000000008680: 042BB102
	v_cndmask_b32_e64 v21, v21, 0, s[36:37]                    // 000000008684: D1000015 00910115
	v_mov_b32_e32 v2, v216                                     // 00000000868C: 7E0403D8
	v_mul_f32_e32 v212, s5, v216                               // 000000008690: 0BA9B005
	v_mul_f32_e32 v21, s5, v21                                 // 000000008694: 0A2A2A05
	v_exp_f32_e32 v21, v21                                     // 000000008698: 7E2A4115
	v_fma_f32 v60, v60, s5, -v212                              // 00000000869C: D1CB003C 87500B3C
	v_fma_f32 v61, v61, s5, -v212                              // 0000000086A4: D1CB003D 87500B3D
	v_fma_f32 v62, v62, s5, -v212                              // 0000000086AC: D1CB003E 87500B3E
	v_fma_f32 v63, v63, s5, -v212                              // 0000000086B4: D1CB003F 87500B3F
	v_fma_f32 v64, v64, s5, -v212                              // 0000000086BC: D1CB0040 87500B40
	v_fma_f32 v65, v65, s5, -v212                              // 0000000086C4: D1CB0041 87500B41
	v_fma_f32 v66, v66, s5, -v212                              // 0000000086CC: D1CB0042 87500B42
	v_fma_f32 v67, v67, s5, -v212                              // 0000000086D4: D1CB0043 87500B43
	v_fma_f32 v68, v68, s5, -v212                              // 0000000086DC: D1CB0044 87500B44
	v_fma_f32 v69, v69, s5, -v212                              // 0000000086E4: D1CB0045 87500B45
	v_fma_f32 v70, v70, s5, -v212                              // 0000000086EC: D1CB0046 87500B46
	v_fma_f32 v71, v71, s5, -v212                              // 0000000086F4: D1CB0047 87500B47
	v_fma_f32 v72, v72, s5, -v212                              // 0000000086FC: D1CB0048 87500B48
	v_fma_f32 v73, v73, s5, -v212                              // 000000008704: D1CB0049 87500B49
	v_fma_f32 v74, v74, s5, -v212                              // 00000000870C: D1CB004A 87500B4A
	v_fma_f32 v75, v75, s5, -v212                              // 000000008714: D1CB004B 87500B4B
	v_mov_b32_e32 v35, 0xffc00000                              // 00000000871C: 7E4602FF FFC00000
	v_exp_f32_e32 v60, v60                                     // 000000008724: 7E78413C
	v_exp_f32_e32 v61, v61                                     // 000000008728: 7E7A413D
	v_exp_f32_e32 v62, v62                                     // 00000000872C: 7E7C413E
	v_exp_f32_e32 v63, v63                                     // 000000008730: 7E7E413F
	v_exp_f32_e32 v64, v64                                     // 000000008734: 7E804140
	v_exp_f32_e32 v65, v65                                     // 000000008738: 7E824141
	v_exp_f32_e32 v66, v66                                     // 00000000873C: 7E844142
	v_exp_f32_e32 v67, v67                                     // 000000008740: 7E864143
	v_exp_f32_e32 v68, v68                                     // 000000008744: 7E884144
	v_exp_f32_e32 v69, v69                                     // 000000008748: 7E8A4145
	v_exp_f32_e32 v70, v70                                     // 00000000874C: 7E8C4146
	v_exp_f32_e32 v71, v71                                     // 000000008750: 7E8E4147
	v_exp_f32_e32 v72, v72                                     // 000000008754: 7E904148
	v_exp_f32_e32 v73, v73                                     // 000000008758: 7E924149
	v_exp_f32_e32 v74, v74                                     // 00000000875C: 7E94414A
	v_exp_f32_e32 v75, v75                                     // 000000008760: 7E96414B
	v_mul_f32_e32 v4, v21, v4                                  // 000000008764: 0A080915
	v_mov_b32_e32 v35, v60                                     // 000000008768: 7E46033C
	v_add_f32_e32 v35, v61, v35                                // 00000000876C: 0246473D
	v_add_f32_e32 v35, v62, v35                                // 000000008770: 0246473E
	v_add_f32_e32 v35, v63, v35                                // 000000008774: 0246473F
	v_add_f32_e32 v35, v64, v35                                // 000000008778: 02464740
	v_add_f32_e32 v35, v65, v35                                // 00000000877C: 02464741
	v_add_f32_e32 v35, v66, v35                                // 000000008780: 02464742
	v_add_f32_e32 v35, v67, v35                                // 000000008784: 02464743
	;; [unrolled: 1-line block ×3, first 2 shown]
	v_add_f32_e32 v35, v69, v35                                // 00000000878C: 02464745
	v_add_f32_e32 v35, v70, v35                                // 000000008790: 02464746
	v_add_f32_e32 v35, v71, v35                                // 000000008794: 02464747
	;; [unrolled: 1-line block ×3, first 2 shown]
	v_add_f32_e32 v35, v73, v35                                // 00000000879C: 02464749
	v_add_f32_e32 v35, v74, v35                                // 0000000087A0: 0246474A
	v_add_f32_e32 v35, v75, v35                                // 0000000087A4: 0246474B
	v_add_f32_e32 v4, v35, v4                                  // 0000000087A8: 02080923
	v_cvt_pk_fp8_f32 v60, v60, v61                             // 0000000087AC: D2A2003C 00027B3C
	v_cvt_pk_fp8_f32 v60, v62, v63 op_sel:[0,0,1]              // 0000000087B4: D2A2403C 00027F3E
	v_cvt_pk_fp8_f32 v61, v64, v65                             // 0000000087BC: D2A2003D 00028340
	v_cvt_pk_fp8_f32 v61, v66, v67 op_sel:[0,0,1]              // 0000000087C4: D2A2403D 00028742
	v_cvt_pk_fp8_f32 v62, v68, v69                             // 0000000087CC: D2A2003E 00028B44
	v_cvt_pk_fp8_f32 v62, v70, v71 op_sel:[0,0,1]              // 0000000087D4: D2A2403E 00028F46
	v_cvt_pk_fp8_f32 v63, v72, v73                             // 0000000087DC: D2A2003F 00029348
	v_cvt_pk_fp8_f32 v63, v74, v75 op_sel:[0,0,1]              // 0000000087E4: D2A2403F 0002974A
	ds_write_b128 v43, v[60:63] offset:1024                    // 0000000087EC: D9BE0400 00003C2B
	s_waitcnt lgkmcnt(0)                                       // 0000000087F4: BF8CC07F
	s_barrier                                                  // 0000000087F8: BF8A0000
	ds_read_b128 v[60:63], v42 offset:1024                     // 0000000087FC: D9FE0400 3C00002A
	ds_read_b128 v[64:67], v42 offset:2048                     // 000000008804: D9FE0800 4000002A
	s_waitcnt lgkmcnt(0)                                       // 00000000880C: BF8CC07F
	v_permlane32_swap_b32_e32 v60, v62                         // 000000008810: 7E78B53E
	v_permlane32_swap_b32_e32 v61, v63                         // 000000008814: 7E7AB53F
	v_swap_b32 v61, v62                                        // 000000008818: 7E7AA33E
	v_permlane32_swap_b32_e32 v64, v66                         // 00000000881C: 7E80B542
	v_permlane32_swap_b32_e32 v65, v67                         // 000000008820: 7E82B543
	v_swap_b32 v65, v66                                        // 000000008824: 7E82A342
	v_mov_b32_e32 v36, v21                                     // 000000008828: 7E480315
	v_mov_b32_e32 v37, v21                                     // 00000000882C: 7E4A0315
	v_pk_mul_f32 v[76:77], v[36:37], v[76:77]                  // 000000008830: D3B1404C 18029924
	v_pk_mul_f32 v[78:79], v[36:37], v[78:79]                  // 000000008838: D3B1404E 18029D24
	v_pk_mul_f32 v[80:81], v[36:37], v[80:81]                  // 000000008840: D3B14050 1802A124
	v_pk_mul_f32 v[82:83], v[36:37], v[82:83]                  // 000000008848: D3B14052 1802A524
	v_pk_mul_f32 v[84:85], v[36:37], v[84:85]                  // 000000008850: D3B14054 1802A924
	v_pk_mul_f32 v[86:87], v[36:37], v[86:87]                  // 000000008858: D3B14056 1802AD24
	v_pk_mul_f32 v[88:89], v[36:37], v[88:89]                  // 000000008860: D3B14058 1802B124
	v_pk_mul_f32 v[90:91], v[36:37], v[90:91]                  // 000000008868: D3B1405A 1802B524
	v_pk_mul_f32 v[92:93], v[36:37], v[92:93]                  // 000000008870: D3B1405C 1802B924
	v_pk_mul_f32 v[94:95], v[36:37], v[94:95]                  // 000000008878: D3B1405E 1802BD24
	v_pk_mul_f32 v[96:97], v[36:37], v[96:97]                  // 000000008880: D3B14060 1802C124
	v_pk_mul_f32 v[98:99], v[36:37], v[98:99]                  // 000000008888: D3B14062 1802C524
	v_pk_mul_f32 v[100:101], v[36:37], v[100:101]              // 000000008890: D3B14064 1802C924
	v_pk_mul_f32 v[102:103], v[36:37], v[102:103]              // 000000008898: D3B14066 1802CD24
	v_pk_mul_f32 v[104:105], v[36:37], v[104:105]              // 0000000088A0: D3B14068 1802D124
	v_pk_mul_f32 v[106:107], v[36:37], v[106:107]              // 0000000088A8: D3B1406A 1802D524
	v_pk_mul_f32 v[108:109], v[36:37], v[108:109]              // 0000000088B0: D3B1406C 1802D924
	v_pk_mul_f32 v[110:111], v[36:37], v[110:111]              // 0000000088B8: D3B1406E 1802DD24
	v_pk_mul_f32 v[112:113], v[36:37], v[112:113]              // 0000000088C0: D3B14070 1802E124
	v_pk_mul_f32 v[114:115], v[36:37], v[114:115]              // 0000000088C8: D3B14072 1802E524
	v_pk_mul_f32 v[116:117], v[36:37], v[116:117]              // 0000000088D0: D3B14074 1802E924
	v_pk_mul_f32 v[118:119], v[36:37], v[118:119]              // 0000000088D8: D3B14076 1802ED24
	v_pk_mul_f32 v[120:121], v[36:37], v[120:121]              // 0000000088E0: D3B14078 1802F124
	v_pk_mul_f32 v[122:123], v[36:37], v[122:123]              // 0000000088E8: D3B1407A 1802F524
	v_pk_mul_f32 v[124:125], v[36:37], v[124:125]              // 0000000088F0: D3B1407C 1802F924
	v_pk_mul_f32 v[126:127], v[36:37], v[126:127]              // 0000000088F8: D3B1407E 1802FD24
	v_pk_mul_f32 v[128:129], v[36:37], v[128:129]              // 000000008900: D3B14080 18030124
	v_pk_mul_f32 v[130:131], v[36:37], v[130:131]              // 000000008908: D3B14082 18030524
	v_pk_mul_f32 v[132:133], v[36:37], v[132:133]              // 000000008910: D3B14084 18030924
	v_pk_mul_f32 v[134:135], v[36:37], v[134:135]              // 000000008918: D3B14086 18030D24
	v_pk_mul_f32 v[136:137], v[36:37], v[136:137]              // 000000008920: D3B14088 18031124
	v_pk_mul_f32 v[138:139], v[36:37], v[138:139]              // 000000008928: D3B1408A 18031524
	v_pk_mul_f32 v[140:141], v[36:37], v[140:141]              // 000000008930: D3B1408C 18031924
	v_pk_mul_f32 v[142:143], v[36:37], v[142:143]              // 000000008938: D3B1408E 18031D24
	v_pk_mul_f32 v[144:145], v[36:37], v[144:145]              // 000000008940: D3B14090 18032124
	v_pk_mul_f32 v[146:147], v[36:37], v[146:147]              // 000000008948: D3B14092 18032524
	v_pk_mul_f32 v[148:149], v[36:37], v[148:149]              // 000000008950: D3B14094 18032924
	v_pk_mul_f32 v[150:151], v[36:37], v[150:151]              // 000000008958: D3B14096 18032D24
	v_pk_mul_f32 v[152:153], v[36:37], v[152:153]              // 000000008960: D3B14098 18033124
	v_pk_mul_f32 v[154:155], v[36:37], v[154:155]              // 000000008968: D3B1409A 18033524
	v_pk_mul_f32 v[156:157], v[36:37], v[156:157]              // 000000008970: D3B1409C 18033924
	v_pk_mul_f32 v[158:159], v[36:37], v[158:159]              // 000000008978: D3B1409E 18033D24
	v_pk_mul_f32 v[160:161], v[36:37], v[160:161]              // 000000008980: D3B140A0 18034124
	v_pk_mul_f32 v[162:163], v[36:37], v[162:163]              // 000000008988: D3B140A2 18034524
	v_pk_mul_f32 v[164:165], v[36:37], v[164:165]              // 000000008990: D3B140A4 18034924
	v_pk_mul_f32 v[166:167], v[36:37], v[166:167]              // 000000008998: D3B140A6 18034D24
	v_pk_mul_f32 v[168:169], v[36:37], v[168:169]              // 0000000089A0: D3B140A8 18035124
	v_pk_mul_f32 v[170:171], v[36:37], v[170:171]              // 0000000089A8: D3B140AA 18035524
	v_pk_mul_f32 v[172:173], v[36:37], v[172:173]              // 0000000089B0: D3B140AC 18035924
	v_pk_mul_f32 v[174:175], v[36:37], v[174:175]              // 0000000089B8: D3B140AE 18035D24
	v_pk_mul_f32 v[176:177], v[36:37], v[176:177]              // 0000000089C0: D3B140B0 18036124
	v_pk_mul_f32 v[178:179], v[36:37], v[178:179]              // 0000000089C8: D3B140B2 18036524
	v_pk_mul_f32 v[180:181], v[36:37], v[180:181]              // 0000000089D0: D3B140B4 18036924
	v_pk_mul_f32 v[182:183], v[36:37], v[182:183]              // 0000000089D8: D3B140B6 18036D24
	v_pk_mul_f32 v[184:185], v[36:37], v[184:185]              // 0000000089E0: D3B140B8 18037124
	v_pk_mul_f32 v[186:187], v[36:37], v[186:187]              // 0000000089E8: D3B140BA 18037524
	v_pk_mul_f32 v[188:189], v[36:37], v[188:189]              // 0000000089F0: D3B140BC 18037924
	v_pk_mul_f32 v[190:191], v[36:37], v[190:191]              // 0000000089F8: D3B140BE 18037D24
	v_pk_mul_f32 v[192:193], v[36:37], v[192:193]              // 000000008A00: D3B140C0 18038124
	v_pk_mul_f32 v[194:195], v[36:37], v[194:195]              // 000000008A08: D3B140C2 18038524
	v_pk_mul_f32 v[196:197], v[36:37], v[196:197]              // 000000008A10: D3B140C4 18038924
	v_pk_mul_f32 v[198:199], v[36:37], v[198:199]              // 000000008A18: D3B140C6 18038D24
	v_pk_mul_f32 v[200:201], v[36:37], v[200:201]              // 000000008A20: D3B140C8 18039124
	v_pk_mul_f32 v[202:203], v[36:37], v[202:203]              // 000000008A28: D3B140CA 18039524
	v_mfma_f32_32x32x64_f8f6f4 v[76:91], a[72:79], v[60:67], v[76:91]// 000000008A30: D3AE004C 0D327948
	v_mfma_f32_32x32x64_f8f6f4 v[92:107], a[80:87], v[60:67], v[92:107]// 000000008A38: D3AE005C 0D727950
	v_mfma_f32_32x32x64_f8f6f4 v[108:123], a[88:95], v[60:67], v[108:123]// 000000008A40: D3AE006C 0DB27958
	v_mfma_f32_32x32x64_f8f6f4 v[124:139], a[96:103], v[60:67], v[124:139]// 000000008A48: D3AE007C 0DF27960
	v_mfma_f32_32x32x64_f8f6f4 v[140:155], a[104:111], v[60:67], v[140:155]// 000000008A50: D3AE008C 0E327968
	v_mfma_f32_32x32x64_f8f6f4 v[156:171], a[112:119], v[60:67], v[156:171]// 000000008A58: D3AE009C 0E727970
	v_mfma_f32_32x32x64_f8f6f4 v[172:187], a[120:127], v[60:67], v[172:187]// 000000008A60: D3AE00AC 0EB27978
	v_mfma_f32_32x32x64_f8f6f4 v[188:203], a[128:135], v[60:67], v[188:203]// 000000008A68: D3AE00BC 0EF27980
	s_nop 8                                                    // 000000008A70: BF800008
	s_branch label_82C8                                        // 000000008A74: BF820714

0000000000008a78 <label_6678>:
	s_waitcnt lgkmcnt(4)                                       // 000000008A78: BF8CC47F
	v_mfma_f32_32x32x64_f8f6f4 v[44:59], a[72:79], a[0:7], 0   // 000000008A7C: D3AE002C 1A020148
	v_mfma_f32_32x32x64_f8f6f4 v[44:59], a[80:87], a[8:15], v[44:59]// 000000008A84: D3AE002C 1CB21150
	v_mfma_f32_32x32x64_f8f6f4 v[44:59], a[88:95], a[16:23], v[44:59]// 000000008A8C: D3AE002C 1CB22158
	ds_read_b64_tr_b8 a[72:73], v17                            // 000000008A94: DBC40000 48000011
	ds_read_b64_tr_b8 a[74:75], v18                            // 000000008A9C: DBC40000 4A000012
	ds_read_b64_tr_b8 a[76:77], v17 offset:18432               // 000000008AA4: DBC44800 4C000011
	ds_read_b64_tr_b8 a[78:79], v18 offset:18432               // 000000008AAC: DBC44800 4E000012
	v_mfma_f32_32x32x64_f8f6f4 v[44:59], a[96:103], a[24:31], v[44:59]// 000000008AB4: D3AE002C 1CB23160
	ds_read_b64_tr_b8 a[80:81], v19                            // 000000008ABC: DBC40000 50000013
	ds_read_b64_tr_b8 a[82:83], v20                            // 000000008AC4: DBC40000 52000014
	ds_read_b64_tr_b8 a[84:85], v19 offset:18432               // 000000008ACC: DBC44800 54000013
	ds_read_b64_tr_b8 a[86:87], v20 offset:18432               // 000000008AD4: DBC44800 56000014
	v_mfma_f32_32x32x64_f8f6f4 v[44:59], a[104:111], a[32:39], v[44:59]// 000000008ADC: D3AE002C 1CB24168
	ds_read_b64_tr_b8 a[88:89], v17 offset:1024                // 000000008AE4: DBC40400 58000011
	ds_read_b64_tr_b8 a[90:91], v18 offset:1024                // 000000008AEC: DBC40400 5A000012
	ds_read_b64_tr_b8 a[92:93], v17 offset:19456               // 000000008AF4: DBC44C00 5C000011
	ds_read_b64_tr_b8 a[94:95], v18 offset:19456               // 000000008AFC: DBC44C00 5E000012
	v_mfma_f32_32x32x64_f8f6f4 v[44:59], a[112:119], a[40:47], v[44:59]// 000000008B04: D3AE002C 1CB25170
	ds_read_b64_tr_b8 a[96:97], v19 offset:1024                // 000000008B0C: DBC40400 60000013
	ds_read_b64_tr_b8 a[98:99], v20 offset:1024                // 000000008B14: DBC40400 62000014
	ds_read_b64_tr_b8 a[100:101], v19 offset:19456             // 000000008B1C: DBC44C00 64000013
	ds_read_b64_tr_b8 a[102:103], v20 offset:19456             // 000000008B24: DBC44C00 66000014
	v_mfma_f32_32x32x64_f8f6f4 v[44:59], a[120:127], a[48:55], v[44:59]// 000000008B2C: D3AE002C 1CB26178
	ds_read_b64_tr_b8 a[104:105], v17 offset:2048              // 000000008B34: DBC40800 68000011
	ds_read_b64_tr_b8 a[106:107], v18 offset:2048              // 000000008B3C: DBC40800 6A000012
	ds_read_b64_tr_b8 a[108:109], v17 offset:20480             // 000000008B44: DBC45000 6C000011
	ds_read_b64_tr_b8 a[110:111], v18 offset:20480             // 000000008B4C: DBC45000 6E000012
	v_mfma_f32_32x32x64_f8f6f4 v[44:59], a[128:135], a[56:63], v[44:59]// 000000008B54: D3AE002C 1CB27180
	ds_read_b64_tr_b8 a[112:113], v19 offset:2048              // 000000008B5C: DBC40800 70000013
	ds_read_b64_tr_b8 a[114:115], v20 offset:2048              // 000000008B64: DBC40800 72000014
	ds_read_b64_tr_b8 a[116:117], v19 offset:20480             // 000000008B6C: DBC45000 74000013
	ds_read_b64_tr_b8 a[118:119], v20 offset:20480             // 000000008B74: DBC45000 76000014
	v_mfma_f32_32x32x64_f8f6f4 v[44:59], a[136:143], a[64:71], v[44:59]// 000000008B7C: D3AE002C 1CB28188
	ds_read_b64_tr_b8 a[120:121], v17 offset:3072              // 000000008B84: DBC40C00 78000011
	ds_read_b64_tr_b8 a[122:123], v18 offset:3072              // 000000008B8C: DBC40C00 7A000012
	ds_read_b64_tr_b8 a[124:125], v17 offset:21504             // 000000008B94: DBC45400 7C000011
	ds_read_b64_tr_b8 a[126:127], v18 offset:21504             // 000000008B9C: DBC45400 7E000012
	ds_read_b64_tr_b8 a[128:129], v19 offset:3072              // 000000008BA4: DBC40C00 80000013
	ds_read_b64_tr_b8 a[130:131], v20 offset:3072              // 000000008BAC: DBC40C00 82000014
	ds_read_b64_tr_b8 a[132:133], v19 offset:21504             // 000000008BB4: DBC45400 84000013
	ds_read_b64_tr_b8 a[134:135], v20 offset:21504             // 000000008BBC: DBC45400 86000014
	s_cmp_le_i32 s83, s82                                      // 000000008BC4: BF055253
	s_cbranch_scc1 label_6998                                  // 000000008BC8: BF850073
	v_and_b32_e32 v35, 31, v0                                  // 000000008BCC: 2646009F
	v_lshrrev_b32_e32 v35, 3, v35                              // 000000008BD0: 20464683
	v_add_u32_e32 v35, s82, v35                                // 000000008BD4: 68464652
	s_and_b32 s56, 2, s7                                       // 000000008BD8: 86380782
	s_lshl_b32 s56, s56, 1                                     // 000000008BDC: 8E388138
	v_add_u32_e32 v35, s56, v35                                // 000000008BE0: 68464638
	s_sub_u32 s56, s83, 64                                     // 000000008BE4: 80B8C053
	v_lshrrev_b32_e32 v204, 5, v0                              // 000000008BE8: 21980085
	v_mul_i32_i24_e32 v204, 4, v204                            // 000000008BEC: 0D999884
	v_add_u32_e32 v204, s56, v204                              // 000000008BF0: 69999838
	s_and_b32 s56, s7, 1                                       // 000000008BF4: 86388107
	s_mov_b32 s57, 32                                          // 000000008BF8: BEB900A0
	s_mul_i32 s56, s57, s56                                    // 000000008BFC: 92383839
	v_add_u32_e32 v204, s56, v204                              // 000000008C00: 69999838
	v_add_u32_e32 v205, 1, v204                                // 000000008C04: 699B9881
	v_add_u32_e32 v206, 2, v204                                // 000000008C08: 699D9882
	v_add_u32_e32 v207, 3, v204                                // 000000008C0C: 699F9883
	v_mov_b32_e32 v37, 0xff800000                              // 000000008C10: 7E4A02FF FF800000
	v_cmp_le_i32_e64 s[36:37], v204, v35                       // 000000008C18: D0C30024 000247CC
	s_nop 0                                                    // 000000008C20: BF800000
	v_cndmask_b32_e64 v44, v37, v44, s[36:37]                  // 000000008C24: D100002C 00925925
	v_add_u32_e32 v204, 8, v204                                // 000000008C2C: 69999888
	v_cmp_le_i32_e64 s[36:37], v205, v35                       // 000000008C30: D0C30024 000247CD
	s_nop 0                                                    // 000000008C38: BF800000
	v_cndmask_b32_e64 v45, v37, v45, s[36:37]                  // 000000008C3C: D100002D 00925B25
	v_add_u32_e32 v205, 8, v205                                // 000000008C44: 699B9A88
	v_cmp_le_i32_e64 s[36:37], v206, v35                       // 000000008C48: D0C30024 000247CE
	s_nop 0                                                    // 000000008C50: BF800000
	v_cndmask_b32_e64 v46, v37, v46, s[36:37]                  // 000000008C54: D100002E 00925D25
	v_add_u32_e32 v206, 8, v206                                // 000000008C5C: 699D9C88
	v_cmp_le_i32_e64 s[36:37], v207, v35                       // 000000008C60: D0C30024 000247CF
	s_nop 0                                                    // 000000008C68: BF800000
	v_cndmask_b32_e64 v47, v37, v47, s[36:37]                  // 000000008C6C: D100002F 00925F25
	v_add_u32_e32 v207, 8, v207                                // 000000008C74: 699F9E88
	v_cmp_le_i32_e64 s[36:37], v204, v35                       // 000000008C78: D0C30024 000247CC
	s_nop 0                                                    // 000000008C80: BF800000
	v_cndmask_b32_e64 v48, v37, v48, s[36:37]                  // 000000008C84: D1000030 00926125
	v_add_u32_e32 v204, 8, v204                                // 000000008C8C: 69999888
	v_cmp_le_i32_e64 s[36:37], v205, v35                       // 000000008C90: D0C30024 000247CD
	s_nop 0                                                    // 000000008C98: BF800000
	v_cndmask_b32_e64 v49, v37, v49, s[36:37]                  // 000000008C9C: D1000031 00926325
	v_add_u32_e32 v205, 8, v205                                // 000000008CA4: 699B9A88
	v_cmp_le_i32_e64 s[36:37], v206, v35                       // 000000008CA8: D0C30024 000247CE
	s_nop 0                                                    // 000000008CB0: BF800000
	v_cndmask_b32_e64 v50, v37, v50, s[36:37]                  // 000000008CB4: D1000032 00926525
	v_add_u32_e32 v206, 8, v206                                // 000000008CBC: 699D9C88
	v_cmp_le_i32_e64 s[36:37], v207, v35                       // 000000008CC0: D0C30024 000247CF
	s_nop 0                                                    // 000000008CC8: BF800000
	v_cndmask_b32_e64 v51, v37, v51, s[36:37]                  // 000000008CCC: D1000033 00926725
	v_add_u32_e32 v207, 8, v207                                // 000000008CD4: 699F9E88
	v_cmp_le_i32_e64 s[36:37], v204, v35                       // 000000008CD8: D0C30024 000247CC
	s_nop 0                                                    // 000000008CE0: BF800000
	v_cndmask_b32_e64 v52, v37, v52, s[36:37]                  // 000000008CE4: D1000034 00926925
	v_add_u32_e32 v204, 8, v204                                // 000000008CEC: 69999888
	v_cmp_le_i32_e64 s[36:37], v205, v35                       // 000000008CF0: D0C30024 000247CD
	s_nop 0                                                    // 000000008CF8: BF800000
	v_cndmask_b32_e64 v53, v37, v53, s[36:37]                  // 000000008CFC: D1000035 00926B25
	v_add_u32_e32 v205, 8, v205                                // 000000008D04: 699B9A88
	v_cmp_le_i32_e64 s[36:37], v206, v35                       // 000000008D08: D0C30024 000247CE
	s_nop 0                                                    // 000000008D10: BF800000
	v_cndmask_b32_e64 v54, v37, v54, s[36:37]                  // 000000008D14: D1000036 00926D25
	v_add_u32_e32 v206, 8, v206                                // 000000008D1C: 699D9C88
	v_cmp_le_i32_e64 s[36:37], v207, v35                       // 000000008D20: D0C30024 000247CF
	s_nop 0                                                    // 000000008D28: BF800000
	v_cndmask_b32_e64 v55, v37, v55, s[36:37]                  // 000000008D2C: D1000037 00926F25
	v_add_u32_e32 v207, 8, v207                                // 000000008D34: 699F9E88
	v_cmp_le_i32_e64 s[36:37], v204, v35                       // 000000008D38: D0C30024 000247CC
	s_nop 0                                                    // 000000008D40: BF800000
	v_cndmask_b32_e64 v56, v37, v56, s[36:37]                  // 000000008D44: D1000038 00927125
	v_add_u32_e32 v204, 8, v204                                // 000000008D4C: 69999888
	v_cmp_le_i32_e64 s[36:37], v205, v35                       // 000000008D50: D0C30024 000247CD
	s_nop 0                                                    // 000000008D58: BF800000
	v_cndmask_b32_e64 v57, v37, v57, s[36:37]                  // 000000008D5C: D1000039 00927325
	v_add_u32_e32 v205, 8, v205                                // 000000008D64: 699B9A88
	v_cmp_le_i32_e64 s[36:37], v206, v35                       // 000000008D68: D0C30024 000247CE
	s_nop 0                                                    // 000000008D70: BF800000
	v_cndmask_b32_e64 v58, v37, v58, s[36:37]                  // 000000008D74: D100003A 00927525
	v_add_u32_e32 v206, 8, v206                                // 000000008D7C: 699D9C88
	v_cmp_le_i32_e64 s[36:37], v207, v35                       // 000000008D80: D0C30024 000247CF
	s_nop 0                                                    // 000000008D88: BF800000
	v_cndmask_b32_e64 v59, v37, v59, s[36:37]                  // 000000008D8C: D100003B 00927725
	v_add_u32_e32 v207, 8, v207                                // 000000008D94: 699F9E88

0000000000008d98 <label_6998>:
	s_and_b32 s56, s48, 0xff                                   // 000000008D98: 8638FF30 000000FF
	v_mov_b32_e32 v36, s56                                     // 000000008DA0: 7E480238
	v_lshrrev_b32_e32 v204, 5, v0                              // 000000008DA4: 21980085
	v_mul_i32_i24_e32 v204, 4, v204                            // 000000008DA8: 0D999884
	s_and_b32 s56, s7, 1                                       // 000000008DAC: 86388107
	s_mov_b32 s57, 32                                          // 000000008DB0: BEB900A0
	s_mul_i32 s56, s57, s56                                    // 000000008DB4: 92383839
	v_add_u32_e32 v204, s56, v204                              // 000000008DB8: 69999838
	v_add_u32_e32 v205, 1, v204                                // 000000008DBC: 699B9881
	v_add_u32_e32 v206, 2, v204                                // 000000008DC0: 699D9882
	v_add_u32_e32 v207, 3, v204                                // 000000008DC4: 699F9883
	v_mov_b32_e32 v35, 0xff800000                              // 000000008DC8: 7E4602FF FF800000
	v_cmp_lt_u32_e64 s[36:37], v204, v36                       // 000000008DD0: D0C90024 000249CC
	v_add_u32_e32 v204, 8, v204                                // 000000008DD8: 69999888
	s_nop 0                                                    // 000000008DDC: BF800000
	v_cndmask_b32_e64 v44, v35, v44, s[36:37]                  // 000000008DE0: D100002C 00925923
	v_cmp_lt_u32_e64 s[36:37], v205, v36                       // 000000008DE8: D0C90024 000249CD
	v_add_u32_e32 v205, 8, v205                                // 000000008DF0: 699B9A88
	s_nop 0                                                    // 000000008DF4: BF800000
	v_cndmask_b32_e64 v45, v35, v45, s[36:37]                  // 000000008DF8: D100002D 00925B23
	v_cmp_lt_u32_e64 s[36:37], v206, v36                       // 000000008E00: D0C90024 000249CE
	v_add_u32_e32 v206, 8, v206                                // 000000008E08: 699D9C88
	s_nop 0                                                    // 000000008E0C: BF800000
	v_cndmask_b32_e64 v46, v35, v46, s[36:37]                  // 000000008E10: D100002E 00925D23
	v_cmp_lt_u32_e64 s[36:37], v207, v36                       // 000000008E18: D0C90024 000249CF
	v_add_u32_e32 v207, 8, v207                                // 000000008E20: 699F9E88
	s_nop 0                                                    // 000000008E24: BF800000
	v_cndmask_b32_e64 v47, v35, v47, s[36:37]                  // 000000008E28: D100002F 00925F23
	v_cmp_lt_u32_e64 s[36:37], v204, v36                       // 000000008E30: D0C90024 000249CC
	v_add_u32_e32 v204, 8, v204                                // 000000008E38: 69999888
	s_nop 0                                                    // 000000008E3C: BF800000
	v_cndmask_b32_e64 v48, v35, v48, s[36:37]                  // 000000008E40: D1000030 00926123
	v_cmp_lt_u32_e64 s[36:37], v205, v36                       // 000000008E48: D0C90024 000249CD
	v_add_u32_e32 v205, 8, v205                                // 000000008E50: 699B9A88
	s_nop 0                                                    // 000000008E54: BF800000
	v_cndmask_b32_e64 v49, v35, v49, s[36:37]                  // 000000008E58: D1000031 00926323
	v_cmp_lt_u32_e64 s[36:37], v206, v36                       // 000000008E60: D0C90024 000249CE
	v_add_u32_e32 v206, 8, v206                                // 000000008E68: 699D9C88
	s_nop 0                                                    // 000000008E6C: BF800000
	v_cndmask_b32_e64 v50, v35, v50, s[36:37]                  // 000000008E70: D1000032 00926523
	v_cmp_lt_u32_e64 s[36:37], v207, v36                       // 000000008E78: D0C90024 000249CF
	v_add_u32_e32 v207, 8, v207                                // 000000008E80: 699F9E88
	s_nop 0                                                    // 000000008E84: BF800000
	v_cndmask_b32_e64 v51, v35, v51, s[36:37]                  // 000000008E88: D1000033 00926723
	v_cmp_lt_u32_e64 s[36:37], v204, v36                       // 000000008E90: D0C90024 000249CC
	v_add_u32_e32 v204, 8, v204                                // 000000008E98: 69999888
	s_nop 0                                                    // 000000008E9C: BF800000
	v_cndmask_b32_e64 v52, v35, v52, s[36:37]                  // 000000008EA0: D1000034 00926923
	v_cmp_lt_u32_e64 s[36:37], v205, v36                       // 000000008EA8: D0C90024 000249CD
	v_add_u32_e32 v205, 8, v205                                // 000000008EB0: 699B9A88
	s_nop 0                                                    // 000000008EB4: BF800000
	v_cndmask_b32_e64 v53, v35, v53, s[36:37]                  // 000000008EB8: D1000035 00926B23
	v_cmp_lt_u32_e64 s[36:37], v206, v36                       // 000000008EC0: D0C90024 000249CE
	v_add_u32_e32 v206, 8, v206                                // 000000008EC8: 699D9C88
	s_nop 0                                                    // 000000008ECC: BF800000
	v_cndmask_b32_e64 v54, v35, v54, s[36:37]                  // 000000008ED0: D1000036 00926D23
	v_cmp_lt_u32_e64 s[36:37], v207, v36                       // 000000008ED8: D0C90024 000249CF
	v_add_u32_e32 v207, 8, v207                                // 000000008EE0: 699F9E88
	s_nop 0                                                    // 000000008EE4: BF800000
	v_cndmask_b32_e64 v55, v35, v55, s[36:37]                  // 000000008EE8: D1000037 00926F23
	v_cmp_lt_u32_e64 s[36:37], v204, v36                       // 000000008EF0: D0C90024 000249CC
	v_add_u32_e32 v204, 8, v204                                // 000000008EF8: 69999888
	s_nop 0                                                    // 000000008EFC: BF800000
	v_cndmask_b32_e64 v56, v35, v56, s[36:37]                  // 000000008F00: D1000038 00927123
	v_cmp_lt_u32_e64 s[36:37], v205, v36                       // 000000008F08: D0C90024 000249CD
	v_add_u32_e32 v205, 8, v205                                // 000000008F10: 699B9A88
	s_nop 0                                                    // 000000008F14: BF800000
	v_cndmask_b32_e64 v57, v35, v57, s[36:37]                  // 000000008F18: D1000039 00927323
	v_cmp_lt_u32_e64 s[36:37], v206, v36                       // 000000008F20: D0C90024 000249CE
	v_add_u32_e32 v206, 8, v206                                // 000000008F28: 699D9C88
	s_nop 0                                                    // 000000008F2C: BF800000
	v_cndmask_b32_e64 v58, v35, v58, s[36:37]                  // 000000008F30: D100003A 00927523
	v_cmp_lt_u32_e64 s[36:37], v207, v36                       // 000000008F38: D0C90024 000249CF
	v_add_u32_e32 v207, 8, v207                                // 000000008F40: 699F9E88
	s_nop 0                                                    // 000000008F44: BF800000
	v_cndmask_b32_e64 v59, v35, v59, s[36:37]                  // 000000008F48: D100003B 00927723
	s_nop 2                                                    // 000000008F50: BF800002
	v_mov_b32_e32 v213, v44                                    // 000000008F54: 7FAA032C
	v_max3_f32 v213, v44, v45, v213                            // 000000008F58: D1D300D5 07565B2C
	v_max3_f32 v213, v46, v47, v213                            // 000000008F60: D1D300D5 07565F2E
	v_max3_f32 v213, v48, v49, v213                            // 000000008F68: D1D300D5 07566330
	v_max3_f32 v213, v50, v51, v213                            // 000000008F70: D1D300D5 07566732
	v_max3_f32 v213, v52, v53, v213                            // 000000008F78: D1D300D5 07566B34
	v_max3_f32 v213, v54, v55, v213                            // 000000008F80: D1D300D5 07566F36
	v_max3_f32 v213, v56, v57, v213                            // 000000008F88: D1D300D5 07567338
	v_max3_f32 v213, v58, v59, v213                            // 000000008F90: D1D300D5 0756773A
	v_mov_b32_e32 v35, v213                                    // 000000008F98: 7E4603D5
	v_mov_b32_e32 v36, v213                                    // 000000008F9C: 7E4803D5
	s_nop 1                                                    // 000000008FA0: BF800001
	v_permlane32_swap_b32_e32 v35, v36                         // 000000008FA4: 7E46B524
	v_max3_f32 v213, v35, v36, v213                            // 000000008FA8: D1D300D5 07564923
	ds_write_b32 v41, v213                                     // 000000008FB0: D81A0000 0000D529
	s_waitcnt lgkmcnt(0)                                       // 000000008FB8: BF8CC07F
	s_barrier                                                  // 000000008FBC: BF8A0000
	ds_read_b32 v35, v40                                       // 000000008FC0: D86C0000 23000028
	ds_read_b32 v36, v40 offset:256                            // 000000008FC8: D86C0100 24000028
	s_waitcnt lgkmcnt(0)                                       // 000000008FD0: BF8CC07F
	v_max3_f32 v213, v35, v36, v213                            // 000000008FD4: D1D300D5 07564923
	v_mov_b32_e32 v35, 0xff800000                              // 000000008FDC: 7E4602FF FF800000
	v_cmp_eq_u32_e64 s[36:37], v35, v2                         // 000000008FE4: D0CA0024 00020523
	v_max_f32_e32 v216, v213, v2                               // 000000008FEC: 17B005D5
	v_sub_f32_e32 v21, v2, v216                                // 000000008FF0: 042BB102
	v_cndmask_b32_e64 v21, v21, 0, s[36:37]                    // 000000008FF4: D1000015 00910115
	v_mov_b32_e32 v2, v216                                     // 000000008FFC: 7E0403D8
	v_mul_f32_e32 v212, s5, v216                               // 000000009000: 0BA9B005
	v_mul_f32_e32 v21, s5, v21                                 // 000000009004: 0A2A2A05
	v_exp_f32_e32 v21, v21                                     // 000000009008: 7E2A4115
	v_fma_f32 v44, v44, s5, -v212                              // 00000000900C: D1CB002C 87500B2C
	v_fma_f32 v45, v45, s5, -v212                              // 000000009014: D1CB002D 87500B2D
	v_fma_f32 v46, v46, s5, -v212                              // 00000000901C: D1CB002E 87500B2E
	v_fma_f32 v47, v47, s5, -v212                              // 000000009024: D1CB002F 87500B2F
	v_fma_f32 v48, v48, s5, -v212                              // 00000000902C: D1CB0030 87500B30
	v_fma_f32 v49, v49, s5, -v212                              // 000000009034: D1CB0031 87500B31
	v_fma_f32 v50, v50, s5, -v212                              // 00000000903C: D1CB0032 87500B32
	v_fma_f32 v51, v51, s5, -v212                              // 000000009044: D1CB0033 87500B33
	v_fma_f32 v52, v52, s5, -v212                              // 00000000904C: D1CB0034 87500B34
	v_fma_f32 v53, v53, s5, -v212                              // 000000009054: D1CB0035 87500B35
	v_fma_f32 v54, v54, s5, -v212                              // 00000000905C: D1CB0036 87500B36
	v_fma_f32 v55, v55, s5, -v212                              // 000000009064: D1CB0037 87500B37
	v_fma_f32 v56, v56, s5, -v212                              // 00000000906C: D1CB0038 87500B38
	v_fma_f32 v57, v57, s5, -v212                              // 000000009074: D1CB0039 87500B39
	v_fma_f32 v58, v58, s5, -v212                              // 00000000907C: D1CB003A 87500B3A
	v_fma_f32 v59, v59, s5, -v212                              // 000000009084: D1CB003B 87500B3B
	v_mov_b32_e32 v35, 0xffc00000                              // 00000000908C: 7E4602FF FFC00000
	v_exp_f32_e32 v44, v44                                     // 000000009094: 7E58412C
	v_exp_f32_e32 v45, v45                                     // 000000009098: 7E5A412D
	v_exp_f32_e32 v46, v46                                     // 00000000909C: 7E5C412E
	v_exp_f32_e32 v47, v47                                     // 0000000090A0: 7E5E412F
	v_exp_f32_e32 v48, v48                                     // 0000000090A4: 7E604130
	v_exp_f32_e32 v49, v49                                     // 0000000090A8: 7E624131
	v_exp_f32_e32 v50, v50                                     // 0000000090AC: 7E644132
	v_exp_f32_e32 v51, v51                                     // 0000000090B0: 7E664133
	v_exp_f32_e32 v52, v52                                     // 0000000090B4: 7E684134
	v_exp_f32_e32 v53, v53                                     // 0000000090B8: 7E6A4135
	v_exp_f32_e32 v54, v54                                     // 0000000090BC: 7E6C4136
	v_exp_f32_e32 v55, v55                                     // 0000000090C0: 7E6E4137
	v_exp_f32_e32 v56, v56                                     // 0000000090C4: 7E704138
	v_exp_f32_e32 v57, v57                                     // 0000000090C8: 7E724139
	v_exp_f32_e32 v58, v58                                     // 0000000090CC: 7E74413A
	v_exp_f32_e32 v59, v59                                     // 0000000090D0: 7E76413B
	v_mul_f32_e32 v4, v21, v4                                  // 0000000090D4: 0A080915
	v_mov_b32_e32 v35, v44                                     // 0000000090D8: 7E46032C
	v_add_f32_e32 v35, v45, v35                                // 0000000090DC: 0246472D
	v_add_f32_e32 v35, v46, v35                                // 0000000090E0: 0246472E
	v_add_f32_e32 v35, v47, v35                                // 0000000090E4: 0246472F
	v_add_f32_e32 v35, v48, v35                                // 0000000090E8: 02464730
	v_add_f32_e32 v35, v49, v35                                // 0000000090EC: 02464731
	v_add_f32_e32 v35, v50, v35                                // 0000000090F0: 02464732
	v_add_f32_e32 v35, v51, v35                                // 0000000090F4: 02464733
	v_add_f32_e32 v35, v52, v35                                // 0000000090F8: 02464734
	v_add_f32_e32 v35, v53, v35                                // 0000000090FC: 02464735
	v_add_f32_e32 v35, v54, v35                                // 000000009100: 02464736
	v_add_f32_e32 v35, v55, v35                                // 000000009104: 02464737
	;; [unrolled: 1-line block ×3, first 2 shown]
	v_add_f32_e32 v35, v57, v35                                // 00000000910C: 02464739
	v_add_f32_e32 v35, v58, v35                                // 000000009110: 0246473A
	v_add_f32_e32 v35, v59, v35                                // 000000009114: 0246473B
	v_add_f32_e32 v4, v35, v4                                  // 000000009118: 02080923
	v_cvt_pk_fp8_f32 v44, v44, v45                             // 00000000911C: D2A2002C 00025B2C
	v_cvt_pk_fp8_f32 v44, v46, v47 op_sel:[0,0,1]              // 000000009124: D2A2402C 00025F2E
	v_cvt_pk_fp8_f32 v45, v48, v49                             // 00000000912C: D2A2002D 00026330
	v_cvt_pk_fp8_f32 v45, v50, v51 op_sel:[0,0,1]              // 000000009134: D2A2402D 00026732
	v_cvt_pk_fp8_f32 v46, v52, v53                             // 00000000913C: D2A2002E 00026B34
	v_cvt_pk_fp8_f32 v46, v54, v55 op_sel:[0,0,1]              // 000000009144: D2A2402E 00026F36
	v_cvt_pk_fp8_f32 v47, v56, v57                             // 00000000914C: D2A2002F 00027338
	v_cvt_pk_fp8_f32 v47, v58, v59 op_sel:[0,0,1]              // 000000009154: D2A2402F 0002773A
	ds_write_b128 v43, v[44:47] offset:1024                    // 00000000915C: D9BE0400 00002C2B
	s_waitcnt lgkmcnt(0)                                       // 000000009164: BF8CC07F
	s_barrier                                                  // 000000009168: BF8A0000
	ds_read_b128 v[44:47], v42 offset:1024                     // 00000000916C: D9FE0400 2C00002A
	ds_read_b128 v[48:51], v42 offset:2048                     // 000000009174: D9FE0800 3000002A
	s_waitcnt lgkmcnt(0)                                       // 00000000917C: BF8CC07F
	v_permlane32_swap_b32_e32 v44, v46                         // 000000009180: 7E58B52E
	v_permlane32_swap_b32_e32 v45, v47                         // 000000009184: 7E5AB52F
	v_swap_b32 v45, v46                                        // 000000009188: 7E5AA32E
	v_permlane32_swap_b32_e32 v48, v50                         // 00000000918C: 7E60B532
	v_permlane32_swap_b32_e32 v49, v51                         // 000000009190: 7E62B533
	v_swap_b32 v49, v50                                        // 000000009194: 7E62A332
	v_mov_b32_e32 v36, v21                                     // 000000009198: 7E480315
	v_mov_b32_e32 v37, v21                                     // 00000000919C: 7E4A0315
	v_pk_mul_f32 v[76:77], v[36:37], v[76:77]                  // 0000000091A0: D3B1404C 18029924
	v_pk_mul_f32 v[78:79], v[36:37], v[78:79]                  // 0000000091A8: D3B1404E 18029D24
	v_pk_mul_f32 v[80:81], v[36:37], v[80:81]                  // 0000000091B0: D3B14050 1802A124
	v_pk_mul_f32 v[82:83], v[36:37], v[82:83]                  // 0000000091B8: D3B14052 1802A524
	v_pk_mul_f32 v[84:85], v[36:37], v[84:85]                  // 0000000091C0: D3B14054 1802A924
	v_pk_mul_f32 v[86:87], v[36:37], v[86:87]                  // 0000000091C8: D3B14056 1802AD24
	v_pk_mul_f32 v[88:89], v[36:37], v[88:89]                  // 0000000091D0: D3B14058 1802B124
	v_pk_mul_f32 v[90:91], v[36:37], v[90:91]                  // 0000000091D8: D3B1405A 1802B524
	v_pk_mul_f32 v[92:93], v[36:37], v[92:93]                  // 0000000091E0: D3B1405C 1802B924
	v_pk_mul_f32 v[94:95], v[36:37], v[94:95]                  // 0000000091E8: D3B1405E 1802BD24
	v_pk_mul_f32 v[96:97], v[36:37], v[96:97]                  // 0000000091F0: D3B14060 1802C124
	v_pk_mul_f32 v[98:99], v[36:37], v[98:99]                  // 0000000091F8: D3B14062 1802C524
	v_pk_mul_f32 v[100:101], v[36:37], v[100:101]              // 000000009200: D3B14064 1802C924
	v_pk_mul_f32 v[102:103], v[36:37], v[102:103]              // 000000009208: D3B14066 1802CD24
	v_pk_mul_f32 v[104:105], v[36:37], v[104:105]              // 000000009210: D3B14068 1802D124
	v_pk_mul_f32 v[106:107], v[36:37], v[106:107]              // 000000009218: D3B1406A 1802D524
	v_pk_mul_f32 v[108:109], v[36:37], v[108:109]              // 000000009220: D3B1406C 1802D924
	v_pk_mul_f32 v[110:111], v[36:37], v[110:111]              // 000000009228: D3B1406E 1802DD24
	v_pk_mul_f32 v[112:113], v[36:37], v[112:113]              // 000000009230: D3B14070 1802E124
	v_pk_mul_f32 v[114:115], v[36:37], v[114:115]              // 000000009238: D3B14072 1802E524
	v_pk_mul_f32 v[116:117], v[36:37], v[116:117]              // 000000009240: D3B14074 1802E924
	v_pk_mul_f32 v[118:119], v[36:37], v[118:119]              // 000000009248: D3B14076 1802ED24
	v_pk_mul_f32 v[120:121], v[36:37], v[120:121]              // 000000009250: D3B14078 1802F124
	v_pk_mul_f32 v[122:123], v[36:37], v[122:123]              // 000000009258: D3B1407A 1802F524
	v_pk_mul_f32 v[124:125], v[36:37], v[124:125]              // 000000009260: D3B1407C 1802F924
	v_pk_mul_f32 v[126:127], v[36:37], v[126:127]              // 000000009268: D3B1407E 1802FD24
	v_pk_mul_f32 v[128:129], v[36:37], v[128:129]              // 000000009270: D3B14080 18030124
	v_pk_mul_f32 v[130:131], v[36:37], v[130:131]              // 000000009278: D3B14082 18030524
	v_pk_mul_f32 v[132:133], v[36:37], v[132:133]              // 000000009280: D3B14084 18030924
	v_pk_mul_f32 v[134:135], v[36:37], v[134:135]              // 000000009288: D3B14086 18030D24
	v_pk_mul_f32 v[136:137], v[36:37], v[136:137]              // 000000009290: D3B14088 18031124
	v_pk_mul_f32 v[138:139], v[36:37], v[138:139]              // 000000009298: D3B1408A 18031524
	v_pk_mul_f32 v[140:141], v[36:37], v[140:141]              // 0000000092A0: D3B1408C 18031924
	v_pk_mul_f32 v[142:143], v[36:37], v[142:143]              // 0000000092A8: D3B1408E 18031D24
	v_pk_mul_f32 v[144:145], v[36:37], v[144:145]              // 0000000092B0: D3B14090 18032124
	v_pk_mul_f32 v[146:147], v[36:37], v[146:147]              // 0000000092B8: D3B14092 18032524
	v_pk_mul_f32 v[148:149], v[36:37], v[148:149]              // 0000000092C0: D3B14094 18032924
	v_pk_mul_f32 v[150:151], v[36:37], v[150:151]              // 0000000092C8: D3B14096 18032D24
	v_pk_mul_f32 v[152:153], v[36:37], v[152:153]              // 0000000092D0: D3B14098 18033124
	v_pk_mul_f32 v[154:155], v[36:37], v[154:155]              // 0000000092D8: D3B1409A 18033524
	v_pk_mul_f32 v[156:157], v[36:37], v[156:157]              // 0000000092E0: D3B1409C 18033924
	v_pk_mul_f32 v[158:159], v[36:37], v[158:159]              // 0000000092E8: D3B1409E 18033D24
	v_pk_mul_f32 v[160:161], v[36:37], v[160:161]              // 0000000092F0: D3B140A0 18034124
	v_pk_mul_f32 v[162:163], v[36:37], v[162:163]              // 0000000092F8: D3B140A2 18034524
	v_pk_mul_f32 v[164:165], v[36:37], v[164:165]              // 000000009300: D3B140A4 18034924
	v_pk_mul_f32 v[166:167], v[36:37], v[166:167]              // 000000009308: D3B140A6 18034D24
	v_pk_mul_f32 v[168:169], v[36:37], v[168:169]              // 000000009310: D3B140A8 18035124
	v_pk_mul_f32 v[170:171], v[36:37], v[170:171]              // 000000009318: D3B140AA 18035524
	v_pk_mul_f32 v[172:173], v[36:37], v[172:173]              // 000000009320: D3B140AC 18035924
	v_pk_mul_f32 v[174:175], v[36:37], v[174:175]              // 000000009328: D3B140AE 18035D24
	v_pk_mul_f32 v[176:177], v[36:37], v[176:177]              // 000000009330: D3B140B0 18036124
	v_pk_mul_f32 v[178:179], v[36:37], v[178:179]              // 000000009338: D3B140B2 18036524
	v_pk_mul_f32 v[180:181], v[36:37], v[180:181]              // 000000009340: D3B140B4 18036924
	v_pk_mul_f32 v[182:183], v[36:37], v[182:183]              // 000000009348: D3B140B6 18036D24
	v_pk_mul_f32 v[184:185], v[36:37], v[184:185]              // 000000009350: D3B140B8 18037124
	v_pk_mul_f32 v[186:187], v[36:37], v[186:187]              // 000000009358: D3B140BA 18037524
	v_pk_mul_f32 v[188:189], v[36:37], v[188:189]              // 000000009360: D3B140BC 18037924
	v_pk_mul_f32 v[190:191], v[36:37], v[190:191]              // 000000009368: D3B140BE 18037D24
	v_pk_mul_f32 v[192:193], v[36:37], v[192:193]              // 000000009370: D3B140C0 18038124
	v_pk_mul_f32 v[194:195], v[36:37], v[194:195]              // 000000009378: D3B140C2 18038524
	v_pk_mul_f32 v[196:197], v[36:37], v[196:197]              // 000000009380: D3B140C4 18038924
	v_pk_mul_f32 v[198:199], v[36:37], v[198:199]              // 000000009388: D3B140C6 18038D24
	v_pk_mul_f32 v[200:201], v[36:37], v[200:201]              // 000000009390: D3B140C8 18039124
	v_pk_mul_f32 v[202:203], v[36:37], v[202:203]              // 000000009398: D3B140CA 18039524
	v_mfma_f32_32x32x64_f8f6f4 v[76:91], a[72:79], v[44:51], v[76:91]// 0000000093A0: D3AE004C 0D325948
	v_mfma_f32_32x32x64_f8f6f4 v[92:107], a[80:87], v[44:51], v[92:107]// 0000000093A8: D3AE005C 0D725950
	v_mfma_f32_32x32x64_f8f6f4 v[108:123], a[88:95], v[44:51], v[108:123]// 0000000093B0: D3AE006C 0DB25958
	v_mfma_f32_32x32x64_f8f6f4 v[124:139], a[96:103], v[44:51], v[124:139]// 0000000093B8: D3AE007C 0DF25960
	v_mfma_f32_32x32x64_f8f6f4 v[140:155], a[104:111], v[44:51], v[140:155]// 0000000093C0: D3AE008C 0E325968
	v_mfma_f32_32x32x64_f8f6f4 v[156:171], a[112:119], v[44:51], v[156:171]// 0000000093C8: D3AE009C 0E725970
	v_mfma_f32_32x32x64_f8f6f4 v[172:187], a[120:127], v[44:51], v[172:187]// 0000000093D0: D3AE00AC 0EB25978
	v_mfma_f32_32x32x64_f8f6f4 v[188:203], a[128:135], v[44:51], v[188:203]// 0000000093D8: D3AE00BC 0EF25980
	s_nop 8                                                    // 0000000093E0: BF800008
	s_branch label_82C8                                        // 0000000093E4: BF8204B8

00000000000093e8 <label_6FE8>:
	s_waitcnt lgkmcnt(4)                                       // 0000000093E8: BF8CC47F
	v_mfma_f32_32x32x64_f8f6f4 v[60:75], a[72:79], a[0:7], 0   // 0000000093EC: D3AE003C 1A020148
	v_mfma_f32_32x32x64_f8f6f4 v[60:75], a[80:87], a[8:15], v[60:75]// 0000000093F4: D3AE003C 1CF21150
	v_mfma_f32_32x32x64_f8f6f4 v[60:75], a[88:95], a[16:23], v[60:75]// 0000000093FC: D3AE003C 1CF22158
	ds_read_b64_tr_b8 a[72:73], v5                             // 000000009404: DBC40000 48000005
	ds_read_b64_tr_b8 a[74:75], v6                             // 00000000940C: DBC40000 4A000006
	ds_read_b64_tr_b8 a[76:77], v5 offset:18432                // 000000009414: DBC44800 4C000005
	ds_read_b64_tr_b8 a[78:79], v6 offset:18432                // 00000000941C: DBC44800 4E000006
	v_mfma_f32_32x32x64_f8f6f4 v[60:75], a[96:103], a[24:31], v[60:75]// 000000009424: D3AE003C 1CF23160
	ds_read_b64_tr_b8 a[80:81], v7                             // 00000000942C: DBC40000 50000007
	ds_read_b64_tr_b8 a[82:83], v8                             // 000000009434: DBC40000 52000008
	ds_read_b64_tr_b8 a[84:85], v7 offset:18432                // 00000000943C: DBC44800 54000007
	ds_read_b64_tr_b8 a[86:87], v8 offset:18432                // 000000009444: DBC44800 56000008
	v_mfma_f32_32x32x64_f8f6f4 v[60:75], a[104:111], a[32:39], v[60:75]// 00000000944C: D3AE003C 1CF24168
	ds_read_b64_tr_b8 a[88:89], v5 offset:1024                 // 000000009454: DBC40400 58000005
	ds_read_b64_tr_b8 a[90:91], v6 offset:1024                 // 00000000945C: DBC40400 5A000006
	ds_read_b64_tr_b8 a[92:93], v5 offset:19456                // 000000009464: DBC44C00 5C000005
	ds_read_b64_tr_b8 a[94:95], v6 offset:19456                // 00000000946C: DBC44C00 5E000006
	v_mfma_f32_32x32x64_f8f6f4 v[60:75], a[112:119], a[40:47], v[60:75]// 000000009474: D3AE003C 1CF25170
	ds_read_b64_tr_b8 a[96:97], v7 offset:1024                 // 00000000947C: DBC40400 60000007
	ds_read_b64_tr_b8 a[98:99], v8 offset:1024                 // 000000009484: DBC40400 62000008
	ds_read_b64_tr_b8 a[100:101], v7 offset:19456              // 00000000948C: DBC44C00 64000007
	ds_read_b64_tr_b8 a[102:103], v8 offset:19456              // 000000009494: DBC44C00 66000008
	v_mfma_f32_32x32x64_f8f6f4 v[60:75], a[120:127], a[48:55], v[60:75]// 00000000949C: D3AE003C 1CF26178
	ds_read_b64_tr_b8 a[104:105], v5 offset:2048               // 0000000094A4: DBC40800 68000005
	ds_read_b64_tr_b8 a[106:107], v6 offset:2048               // 0000000094AC: DBC40800 6A000006
	ds_read_b64_tr_b8 a[108:109], v5 offset:20480              // 0000000094B4: DBC45000 6C000005
	ds_read_b64_tr_b8 a[110:111], v6 offset:20480              // 0000000094BC: DBC45000 6E000006
	v_mfma_f32_32x32x64_f8f6f4 v[60:75], a[128:135], a[56:63], v[60:75]// 0000000094C4: D3AE003C 1CF27180
	ds_read_b64_tr_b8 a[112:113], v7 offset:2048               // 0000000094CC: DBC40800 70000007
	ds_read_b64_tr_b8 a[114:115], v8 offset:2048               // 0000000094D4: DBC40800 72000008
	ds_read_b64_tr_b8 a[116:117], v7 offset:20480              // 0000000094DC: DBC45000 74000007
	ds_read_b64_tr_b8 a[118:119], v8 offset:20480              // 0000000094E4: DBC45000 76000008
	v_mfma_f32_32x32x64_f8f6f4 v[60:75], a[136:143], a[64:71], v[60:75]// 0000000094EC: D3AE003C 1CF28188
	ds_read_b64_tr_b8 a[120:121], v5 offset:3072               // 0000000094F4: DBC40C00 78000005
	ds_read_b64_tr_b8 a[122:123], v6 offset:3072               // 0000000094FC: DBC40C00 7A000006
	ds_read_b64_tr_b8 a[124:125], v5 offset:21504              // 000000009504: DBC45400 7C000005
	ds_read_b64_tr_b8 a[126:127], v6 offset:21504              // 00000000950C: DBC45400 7E000006
	ds_read_b64_tr_b8 a[128:129], v7 offset:3072               // 000000009514: DBC40C00 80000007
	ds_read_b64_tr_b8 a[130:131], v8 offset:3072               // 00000000951C: DBC40C00 82000008
	ds_read_b64_tr_b8 a[132:133], v7 offset:21504              // 000000009524: DBC45400 84000007
	ds_read_b64_tr_b8 a[134:135], v8 offset:21504              // 00000000952C: DBC45400 86000008
	s_cmp_le_i32 s83, s82                                      // 000000009534: BF055253
	s_cbranch_scc1 label_7308                                  // 000000009538: BF850073
	v_and_b32_e32 v35, 31, v0                                  // 00000000953C: 2646009F
	v_lshrrev_b32_e32 v35, 3, v35                              // 000000009540: 20464683
	v_add_u32_e32 v35, s82, v35                                // 000000009544: 68464652
	s_and_b32 s56, 2, s7                                       // 000000009548: 86380782
	s_lshl_b32 s56, s56, 1                                     // 00000000954C: 8E388138
	v_add_u32_e32 v35, s56, v35                                // 000000009550: 68464638
	s_sub_u32 s56, s83, 64                                     // 000000009554: 80B8C053
	v_lshrrev_b32_e32 v204, 5, v0                              // 000000009558: 21980085
	v_mul_i32_i24_e32 v204, 4, v204                            // 00000000955C: 0D999884
	v_add_u32_e32 v204, s56, v204                              // 000000009560: 69999838
	s_and_b32 s56, s7, 1                                       // 000000009564: 86388107
	s_mov_b32 s57, 32                                          // 000000009568: BEB900A0
	s_mul_i32 s56, s57, s56                                    // 00000000956C: 92383839
	v_add_u32_e32 v204, s56, v204                              // 000000009570: 69999838
	v_add_u32_e32 v205, 1, v204                                // 000000009574: 699B9881
	v_add_u32_e32 v206, 2, v204                                // 000000009578: 699D9882
	v_add_u32_e32 v207, 3, v204                                // 00000000957C: 699F9883
	v_mov_b32_e32 v37, 0xff800000                              // 000000009580: 7E4A02FF FF800000
	v_cmp_le_i32_e64 s[36:37], v204, v35                       // 000000009588: D0C30024 000247CC
	s_nop 0                                                    // 000000009590: BF800000
	v_cndmask_b32_e64 v60, v37, v60, s[36:37]                  // 000000009594: D100003C 00927925
	v_add_u32_e32 v204, 8, v204                                // 00000000959C: 69999888
	v_cmp_le_i32_e64 s[36:37], v205, v35                       // 0000000095A0: D0C30024 000247CD
	s_nop 0                                                    // 0000000095A8: BF800000
	v_cndmask_b32_e64 v61, v37, v61, s[36:37]                  // 0000000095AC: D100003D 00927B25
	v_add_u32_e32 v205, 8, v205                                // 0000000095B4: 699B9A88
	v_cmp_le_i32_e64 s[36:37], v206, v35                       // 0000000095B8: D0C30024 000247CE
	s_nop 0                                                    // 0000000095C0: BF800000
	v_cndmask_b32_e64 v62, v37, v62, s[36:37]                  // 0000000095C4: D100003E 00927D25
	v_add_u32_e32 v206, 8, v206                                // 0000000095CC: 699D9C88
	v_cmp_le_i32_e64 s[36:37], v207, v35                       // 0000000095D0: D0C30024 000247CF
	s_nop 0                                                    // 0000000095D8: BF800000
	v_cndmask_b32_e64 v63, v37, v63, s[36:37]                  // 0000000095DC: D100003F 00927F25
	v_add_u32_e32 v207, 8, v207                                // 0000000095E4: 699F9E88
	v_cmp_le_i32_e64 s[36:37], v204, v35                       // 0000000095E8: D0C30024 000247CC
	s_nop 0                                                    // 0000000095F0: BF800000
	v_cndmask_b32_e64 v64, v37, v64, s[36:37]                  // 0000000095F4: D1000040 00928125
	v_add_u32_e32 v204, 8, v204                                // 0000000095FC: 69999888
	v_cmp_le_i32_e64 s[36:37], v205, v35                       // 000000009600: D0C30024 000247CD
	s_nop 0                                                    // 000000009608: BF800000
	v_cndmask_b32_e64 v65, v37, v65, s[36:37]                  // 00000000960C: D1000041 00928325
	v_add_u32_e32 v205, 8, v205                                // 000000009614: 699B9A88
	v_cmp_le_i32_e64 s[36:37], v206, v35                       // 000000009618: D0C30024 000247CE
	s_nop 0                                                    // 000000009620: BF800000
	v_cndmask_b32_e64 v66, v37, v66, s[36:37]                  // 000000009624: D1000042 00928525
	v_add_u32_e32 v206, 8, v206                                // 00000000962C: 699D9C88
	v_cmp_le_i32_e64 s[36:37], v207, v35                       // 000000009630: D0C30024 000247CF
	s_nop 0                                                    // 000000009638: BF800000
	v_cndmask_b32_e64 v67, v37, v67, s[36:37]                  // 00000000963C: D1000043 00928725
	v_add_u32_e32 v207, 8, v207                                // 000000009644: 699F9E88
	v_cmp_le_i32_e64 s[36:37], v204, v35                       // 000000009648: D0C30024 000247CC
	s_nop 0                                                    // 000000009650: BF800000
	v_cndmask_b32_e64 v68, v37, v68, s[36:37]                  // 000000009654: D1000044 00928925
	v_add_u32_e32 v204, 8, v204                                // 00000000965C: 69999888
	v_cmp_le_i32_e64 s[36:37], v205, v35                       // 000000009660: D0C30024 000247CD
	s_nop 0                                                    // 000000009668: BF800000
	v_cndmask_b32_e64 v69, v37, v69, s[36:37]                  // 00000000966C: D1000045 00928B25
	v_add_u32_e32 v205, 8, v205                                // 000000009674: 699B9A88
	v_cmp_le_i32_e64 s[36:37], v206, v35                       // 000000009678: D0C30024 000247CE
	s_nop 0                                                    // 000000009680: BF800000
	v_cndmask_b32_e64 v70, v37, v70, s[36:37]                  // 000000009684: D1000046 00928D25
	v_add_u32_e32 v206, 8, v206                                // 00000000968C: 699D9C88
	v_cmp_le_i32_e64 s[36:37], v207, v35                       // 000000009690: D0C30024 000247CF
	s_nop 0                                                    // 000000009698: BF800000
	v_cndmask_b32_e64 v71, v37, v71, s[36:37]                  // 00000000969C: D1000047 00928F25
	v_add_u32_e32 v207, 8, v207                                // 0000000096A4: 699F9E88
	v_cmp_le_i32_e64 s[36:37], v204, v35                       // 0000000096A8: D0C30024 000247CC
	s_nop 0                                                    // 0000000096B0: BF800000
	v_cndmask_b32_e64 v72, v37, v72, s[36:37]                  // 0000000096B4: D1000048 00929125
	v_add_u32_e32 v204, 8, v204                                // 0000000096BC: 69999888
	v_cmp_le_i32_e64 s[36:37], v205, v35                       // 0000000096C0: D0C30024 000247CD
	s_nop 0                                                    // 0000000096C8: BF800000
	v_cndmask_b32_e64 v73, v37, v73, s[36:37]                  // 0000000096CC: D1000049 00929325
	v_add_u32_e32 v205, 8, v205                                // 0000000096D4: 699B9A88
	v_cmp_le_i32_e64 s[36:37], v206, v35                       // 0000000096D8: D0C30024 000247CE
	s_nop 0                                                    // 0000000096E0: BF800000
	v_cndmask_b32_e64 v74, v37, v74, s[36:37]                  // 0000000096E4: D100004A 00929525
	v_add_u32_e32 v206, 8, v206                                // 0000000096EC: 699D9C88
	v_cmp_le_i32_e64 s[36:37], v207, v35                       // 0000000096F0: D0C30024 000247CF
	s_nop 0                                                    // 0000000096F8: BF800000
	v_cndmask_b32_e64 v75, v37, v75, s[36:37]                  // 0000000096FC: D100004B 00929725
	v_add_u32_e32 v207, 8, v207                                // 000000009704: 699F9E88

0000000000009708 <label_7308>:
	s_and_b32 s56, s48, 0xff                                   // 000000009708: 8638FF30 000000FF
	v_mov_b32_e32 v36, s56                                     // 000000009710: 7E480238
	v_lshrrev_b32_e32 v204, 5, v0                              // 000000009714: 21980085
	v_mul_i32_i24_e32 v204, 4, v204                            // 000000009718: 0D999884
	s_and_b32 s56, s7, 1                                       // 00000000971C: 86388107
	s_mov_b32 s57, 32                                          // 000000009720: BEB900A0
	s_mul_i32 s56, s57, s56                                    // 000000009724: 92383839
	v_add_u32_e32 v204, s56, v204                              // 000000009728: 69999838
	v_add_u32_e32 v205, 1, v204                                // 00000000972C: 699B9881
	v_add_u32_e32 v206, 2, v204                                // 000000009730: 699D9882
	v_add_u32_e32 v207, 3, v204                                // 000000009734: 699F9883
	v_mov_b32_e32 v35, 0xff800000                              // 000000009738: 7E4602FF FF800000
	v_cmp_lt_u32_e64 s[36:37], v204, v36                       // 000000009740: D0C90024 000249CC
	v_add_u32_e32 v204, 8, v204                                // 000000009748: 69999888
	s_nop 0                                                    // 00000000974C: BF800000
	v_cndmask_b32_e64 v60, v35, v60, s[36:37]                  // 000000009750: D100003C 00927923
	v_cmp_lt_u32_e64 s[36:37], v205, v36                       // 000000009758: D0C90024 000249CD
	v_add_u32_e32 v205, 8, v205                                // 000000009760: 699B9A88
	s_nop 0                                                    // 000000009764: BF800000
	v_cndmask_b32_e64 v61, v35, v61, s[36:37]                  // 000000009768: D100003D 00927B23
	v_cmp_lt_u32_e64 s[36:37], v206, v36                       // 000000009770: D0C90024 000249CE
	v_add_u32_e32 v206, 8, v206                                // 000000009778: 699D9C88
	s_nop 0                                                    // 00000000977C: BF800000
	v_cndmask_b32_e64 v62, v35, v62, s[36:37]                  // 000000009780: D100003E 00927D23
	v_cmp_lt_u32_e64 s[36:37], v207, v36                       // 000000009788: D0C90024 000249CF
	v_add_u32_e32 v207, 8, v207                                // 000000009790: 699F9E88
	s_nop 0                                                    // 000000009794: BF800000
	v_cndmask_b32_e64 v63, v35, v63, s[36:37]                  // 000000009798: D100003F 00927F23
	v_cmp_lt_u32_e64 s[36:37], v204, v36                       // 0000000097A0: D0C90024 000249CC
	v_add_u32_e32 v204, 8, v204                                // 0000000097A8: 69999888
	s_nop 0                                                    // 0000000097AC: BF800000
	v_cndmask_b32_e64 v64, v35, v64, s[36:37]                  // 0000000097B0: D1000040 00928123
	v_cmp_lt_u32_e64 s[36:37], v205, v36                       // 0000000097B8: D0C90024 000249CD
	v_add_u32_e32 v205, 8, v205                                // 0000000097C0: 699B9A88
	s_nop 0                                                    // 0000000097C4: BF800000
	v_cndmask_b32_e64 v65, v35, v65, s[36:37]                  // 0000000097C8: D1000041 00928323
	v_cmp_lt_u32_e64 s[36:37], v206, v36                       // 0000000097D0: D0C90024 000249CE
	v_add_u32_e32 v206, 8, v206                                // 0000000097D8: 699D9C88
	s_nop 0                                                    // 0000000097DC: BF800000
	v_cndmask_b32_e64 v66, v35, v66, s[36:37]                  // 0000000097E0: D1000042 00928523
	v_cmp_lt_u32_e64 s[36:37], v207, v36                       // 0000000097E8: D0C90024 000249CF
	v_add_u32_e32 v207, 8, v207                                // 0000000097F0: 699F9E88
	s_nop 0                                                    // 0000000097F4: BF800000
	v_cndmask_b32_e64 v67, v35, v67, s[36:37]                  // 0000000097F8: D1000043 00928723
	v_cmp_lt_u32_e64 s[36:37], v204, v36                       // 000000009800: D0C90024 000249CC
	v_add_u32_e32 v204, 8, v204                                // 000000009808: 69999888
	s_nop 0                                                    // 00000000980C: BF800000
	v_cndmask_b32_e64 v68, v35, v68, s[36:37]                  // 000000009810: D1000044 00928923
	v_cmp_lt_u32_e64 s[36:37], v205, v36                       // 000000009818: D0C90024 000249CD
	v_add_u32_e32 v205, 8, v205                                // 000000009820: 699B9A88
	s_nop 0                                                    // 000000009824: BF800000
	v_cndmask_b32_e64 v69, v35, v69, s[36:37]                  // 000000009828: D1000045 00928B23
	v_cmp_lt_u32_e64 s[36:37], v206, v36                       // 000000009830: D0C90024 000249CE
	v_add_u32_e32 v206, 8, v206                                // 000000009838: 699D9C88
	s_nop 0                                                    // 00000000983C: BF800000
	v_cndmask_b32_e64 v70, v35, v70, s[36:37]                  // 000000009840: D1000046 00928D23
	v_cmp_lt_u32_e64 s[36:37], v207, v36                       // 000000009848: D0C90024 000249CF
	v_add_u32_e32 v207, 8, v207                                // 000000009850: 699F9E88
	s_nop 0                                                    // 000000009854: BF800000
	v_cndmask_b32_e64 v71, v35, v71, s[36:37]                  // 000000009858: D1000047 00928F23
	v_cmp_lt_u32_e64 s[36:37], v204, v36                       // 000000009860: D0C90024 000249CC
	v_add_u32_e32 v204, 8, v204                                // 000000009868: 69999888
	s_nop 0                                                    // 00000000986C: BF800000
	v_cndmask_b32_e64 v72, v35, v72, s[36:37]                  // 000000009870: D1000048 00929123
	v_cmp_lt_u32_e64 s[36:37], v205, v36                       // 000000009878: D0C90024 000249CD
	v_add_u32_e32 v205, 8, v205                                // 000000009880: 699B9A88
	s_nop 0                                                    // 000000009884: BF800000
	v_cndmask_b32_e64 v73, v35, v73, s[36:37]                  // 000000009888: D1000049 00929323
	v_cmp_lt_u32_e64 s[36:37], v206, v36                       // 000000009890: D0C90024 000249CE
	v_add_u32_e32 v206, 8, v206                                // 000000009898: 699D9C88
	s_nop 0                                                    // 00000000989C: BF800000
	v_cndmask_b32_e64 v74, v35, v74, s[36:37]                  // 0000000098A0: D100004A 00929523
	v_cmp_lt_u32_e64 s[36:37], v207, v36                       // 0000000098A8: D0C90024 000249CF
	v_add_u32_e32 v207, 8, v207                                // 0000000098B0: 699F9E88
	s_nop 0                                                    // 0000000098B4: BF800000
	v_cndmask_b32_e64 v75, v35, v75, s[36:37]                  // 0000000098B8: D100004B 00929723
	s_nop 2                                                    // 0000000098C0: BF800002
	v_mov_b32_e32 v213, v60                                    // 0000000098C4: 7FAA033C
	v_max3_f32 v213, v60, v61, v213                            // 0000000098C8: D1D300D5 07567B3C
	v_max3_f32 v213, v62, v63, v213                            // 0000000098D0: D1D300D5 07567F3E
	v_max3_f32 v213, v64, v65, v213                            // 0000000098D8: D1D300D5 07568340
	v_max3_f32 v213, v66, v67, v213                            // 0000000098E0: D1D300D5 07568742
	v_max3_f32 v213, v68, v69, v213                            // 0000000098E8: D1D300D5 07568B44
	v_max3_f32 v213, v70, v71, v213                            // 0000000098F0: D1D300D5 07568F46
	v_max3_f32 v213, v72, v73, v213                            // 0000000098F8: D1D300D5 07569348
	v_max3_f32 v213, v74, v75, v213                            // 000000009900: D1D300D5 0756974A
	v_mov_b32_e32 v35, v213                                    // 000000009908: 7E4603D5
	v_mov_b32_e32 v36, v213                                    // 00000000990C: 7E4803D5
	s_nop 1                                                    // 000000009910: BF800001
	v_permlane32_swap_b32_e32 v35, v36                         // 000000009914: 7E46B524
	v_max3_f32 v213, v35, v36, v213                            // 000000009918: D1D300D5 07564923
	ds_write_b32 v41, v213                                     // 000000009920: D81A0000 0000D529
	s_waitcnt lgkmcnt(0)                                       // 000000009928: BF8CC07F
	s_barrier                                                  // 00000000992C: BF8A0000
	ds_read_b32 v35, v40                                       // 000000009930: D86C0000 23000028
	ds_read_b32 v36, v40 offset:256                            // 000000009938: D86C0100 24000028
	s_waitcnt lgkmcnt(0)                                       // 000000009940: BF8CC07F
	v_max3_f32 v213, v35, v36, v213                            // 000000009944: D1D300D5 07564923
	v_mov_b32_e32 v35, 0xff800000                              // 00000000994C: 7E4602FF FF800000
	v_cmp_eq_u32_e64 s[36:37], v35, v2                         // 000000009954: D0CA0024 00020523
	v_max_f32_e32 v216, v213, v2                               // 00000000995C: 17B005D5
	v_sub_f32_e32 v21, v2, v216                                // 000000009960: 042BB102
	v_cndmask_b32_e64 v21, v21, 0, s[36:37]                    // 000000009964: D1000015 00910115
	v_mov_b32_e32 v2, v216                                     // 00000000996C: 7E0403D8
	v_mul_f32_e32 v212, s5, v216                               // 000000009970: 0BA9B005
	v_mul_f32_e32 v21, s5, v21                                 // 000000009974: 0A2A2A05
	v_exp_f32_e32 v21, v21                                     // 000000009978: 7E2A4115
	v_fma_f32 v60, v60, s5, -v212                              // 00000000997C: D1CB003C 87500B3C
	v_fma_f32 v61, v61, s5, -v212                              // 000000009984: D1CB003D 87500B3D
	v_fma_f32 v62, v62, s5, -v212                              // 00000000998C: D1CB003E 87500B3E
	v_fma_f32 v63, v63, s5, -v212                              // 000000009994: D1CB003F 87500B3F
	v_fma_f32 v64, v64, s5, -v212                              // 00000000999C: D1CB0040 87500B40
	v_fma_f32 v65, v65, s5, -v212                              // 0000000099A4: D1CB0041 87500B41
	v_fma_f32 v66, v66, s5, -v212                              // 0000000099AC: D1CB0042 87500B42
	v_fma_f32 v67, v67, s5, -v212                              // 0000000099B4: D1CB0043 87500B43
	v_fma_f32 v68, v68, s5, -v212                              // 0000000099BC: D1CB0044 87500B44
	v_fma_f32 v69, v69, s5, -v212                              // 0000000099C4: D1CB0045 87500B45
	v_fma_f32 v70, v70, s5, -v212                              // 0000000099CC: D1CB0046 87500B46
	v_fma_f32 v71, v71, s5, -v212                              // 0000000099D4: D1CB0047 87500B47
	v_fma_f32 v72, v72, s5, -v212                              // 0000000099DC: D1CB0048 87500B48
	v_fma_f32 v73, v73, s5, -v212                              // 0000000099E4: D1CB0049 87500B49
	v_fma_f32 v74, v74, s5, -v212                              // 0000000099EC: D1CB004A 87500B4A
	v_fma_f32 v75, v75, s5, -v212                              // 0000000099F4: D1CB004B 87500B4B
	v_mov_b32_e32 v35, 0xffc00000                              // 0000000099FC: 7E4602FF FFC00000
	v_exp_f32_e32 v60, v60                                     // 000000009A04: 7E78413C
	v_exp_f32_e32 v61, v61                                     // 000000009A08: 7E7A413D
	v_exp_f32_e32 v62, v62                                     // 000000009A0C: 7E7C413E
	v_exp_f32_e32 v63, v63                                     // 000000009A10: 7E7E413F
	v_exp_f32_e32 v64, v64                                     // 000000009A14: 7E804140
	v_exp_f32_e32 v65, v65                                     // 000000009A18: 7E824141
	v_exp_f32_e32 v66, v66                                     // 000000009A1C: 7E844142
	v_exp_f32_e32 v67, v67                                     // 000000009A20: 7E864143
	v_exp_f32_e32 v68, v68                                     // 000000009A24: 7E884144
	v_exp_f32_e32 v69, v69                                     // 000000009A28: 7E8A4145
	v_exp_f32_e32 v70, v70                                     // 000000009A2C: 7E8C4146
	v_exp_f32_e32 v71, v71                                     // 000000009A30: 7E8E4147
	v_exp_f32_e32 v72, v72                                     // 000000009A34: 7E904148
	v_exp_f32_e32 v73, v73                                     // 000000009A38: 7E924149
	v_exp_f32_e32 v74, v74                                     // 000000009A3C: 7E94414A
	v_exp_f32_e32 v75, v75                                     // 000000009A40: 7E96414B
	v_mul_f32_e32 v4, v21, v4                                  // 000000009A44: 0A080915
	v_mov_b32_e32 v35, v60                                     // 000000009A48: 7E46033C
	v_add_f32_e32 v35, v61, v35                                // 000000009A4C: 0246473D
	v_add_f32_e32 v35, v62, v35                                // 000000009A50: 0246473E
	v_add_f32_e32 v35, v63, v35                                // 000000009A54: 0246473F
	v_add_f32_e32 v35, v64, v35                                // 000000009A58: 02464740
	v_add_f32_e32 v35, v65, v35                                // 000000009A5C: 02464741
	v_add_f32_e32 v35, v66, v35                                // 000000009A60: 02464742
	v_add_f32_e32 v35, v67, v35                                // 000000009A64: 02464743
	v_add_f32_e32 v35, v68, v35                                // 000000009A68: 02464744
	v_add_f32_e32 v35, v69, v35                                // 000000009A6C: 02464745
	v_add_f32_e32 v35, v70, v35                                // 000000009A70: 02464746
	v_add_f32_e32 v35, v71, v35                                // 000000009A74: 02464747
	v_add_f32_e32 v35, v72, v35                                // 000000009A78: 02464748
	v_add_f32_e32 v35, v73, v35                                // 000000009A7C: 02464749
	v_add_f32_e32 v35, v74, v35                                // 000000009A80: 0246474A
	v_add_f32_e32 v35, v75, v35                                // 000000009A84: 0246474B
	v_add_f32_e32 v4, v35, v4                                  // 000000009A88: 02080923
	v_cvt_pk_fp8_f32 v60, v60, v61                             // 000000009A8C: D2A2003C 00027B3C
	v_cvt_pk_fp8_f32 v60, v62, v63 op_sel:[0,0,1]              // 000000009A94: D2A2403C 00027F3E
	v_cvt_pk_fp8_f32 v61, v64, v65                             // 000000009A9C: D2A2003D 00028340
	v_cvt_pk_fp8_f32 v61, v66, v67 op_sel:[0,0,1]              // 000000009AA4: D2A2403D 00028742
	v_cvt_pk_fp8_f32 v62, v68, v69                             // 000000009AAC: D2A2003E 00028B44
	v_cvt_pk_fp8_f32 v62, v70, v71 op_sel:[0,0,1]              // 000000009AB4: D2A2403E 00028F46
	v_cvt_pk_fp8_f32 v63, v72, v73                             // 000000009ABC: D2A2003F 00029348
	v_cvt_pk_fp8_f32 v63, v74, v75 op_sel:[0,0,1]              // 000000009AC4: D2A2403F 0002974A
	ds_write_b128 v43, v[60:63] offset:1024                    // 000000009ACC: D9BE0400 00003C2B
	s_waitcnt lgkmcnt(0)                                       // 000000009AD4: BF8CC07F
	s_barrier                                                  // 000000009AD8: BF8A0000
	ds_read_b128 v[60:63], v42 offset:1024                     // 000000009ADC: D9FE0400 3C00002A
	ds_read_b128 v[64:67], v42 offset:2048                     // 000000009AE4: D9FE0800 4000002A
	s_waitcnt lgkmcnt(0)                                       // 000000009AEC: BF8CC07F
	v_permlane32_swap_b32_e32 v60, v62                         // 000000009AF0: 7E78B53E
	v_permlane32_swap_b32_e32 v61, v63                         // 000000009AF4: 7E7AB53F
	v_swap_b32 v61, v62                                        // 000000009AF8: 7E7AA33E
	v_permlane32_swap_b32_e32 v64, v66                         // 000000009AFC: 7E80B542
	v_permlane32_swap_b32_e32 v65, v67                         // 000000009B00: 7E82B543
	v_swap_b32 v65, v66                                        // 000000009B04: 7E82A342
	v_mov_b32_e32 v36, v21                                     // 000000009B08: 7E480315
	v_mov_b32_e32 v37, v21                                     // 000000009B0C: 7E4A0315
	v_pk_mul_f32 v[76:77], v[36:37], v[76:77]                  // 000000009B10: D3B1404C 18029924
	v_pk_mul_f32 v[78:79], v[36:37], v[78:79]                  // 000000009B18: D3B1404E 18029D24
	v_pk_mul_f32 v[80:81], v[36:37], v[80:81]                  // 000000009B20: D3B14050 1802A124
	v_pk_mul_f32 v[82:83], v[36:37], v[82:83]                  // 000000009B28: D3B14052 1802A524
	v_pk_mul_f32 v[84:85], v[36:37], v[84:85]                  // 000000009B30: D3B14054 1802A924
	v_pk_mul_f32 v[86:87], v[36:37], v[86:87]                  // 000000009B38: D3B14056 1802AD24
	v_pk_mul_f32 v[88:89], v[36:37], v[88:89]                  // 000000009B40: D3B14058 1802B124
	v_pk_mul_f32 v[90:91], v[36:37], v[90:91]                  // 000000009B48: D3B1405A 1802B524
	v_pk_mul_f32 v[92:93], v[36:37], v[92:93]                  // 000000009B50: D3B1405C 1802B924
	v_pk_mul_f32 v[94:95], v[36:37], v[94:95]                  // 000000009B58: D3B1405E 1802BD24
	v_pk_mul_f32 v[96:97], v[36:37], v[96:97]                  // 000000009B60: D3B14060 1802C124
	v_pk_mul_f32 v[98:99], v[36:37], v[98:99]                  // 000000009B68: D3B14062 1802C524
	v_pk_mul_f32 v[100:101], v[36:37], v[100:101]              // 000000009B70: D3B14064 1802C924
	v_pk_mul_f32 v[102:103], v[36:37], v[102:103]              // 000000009B78: D3B14066 1802CD24
	v_pk_mul_f32 v[104:105], v[36:37], v[104:105]              // 000000009B80: D3B14068 1802D124
	v_pk_mul_f32 v[106:107], v[36:37], v[106:107]              // 000000009B88: D3B1406A 1802D524
	v_pk_mul_f32 v[108:109], v[36:37], v[108:109]              // 000000009B90: D3B1406C 1802D924
	v_pk_mul_f32 v[110:111], v[36:37], v[110:111]              // 000000009B98: D3B1406E 1802DD24
	v_pk_mul_f32 v[112:113], v[36:37], v[112:113]              // 000000009BA0: D3B14070 1802E124
	v_pk_mul_f32 v[114:115], v[36:37], v[114:115]              // 000000009BA8: D3B14072 1802E524
	v_pk_mul_f32 v[116:117], v[36:37], v[116:117]              // 000000009BB0: D3B14074 1802E924
	v_pk_mul_f32 v[118:119], v[36:37], v[118:119]              // 000000009BB8: D3B14076 1802ED24
	v_pk_mul_f32 v[120:121], v[36:37], v[120:121]              // 000000009BC0: D3B14078 1802F124
	v_pk_mul_f32 v[122:123], v[36:37], v[122:123]              // 000000009BC8: D3B1407A 1802F524
	v_pk_mul_f32 v[124:125], v[36:37], v[124:125]              // 000000009BD0: D3B1407C 1802F924
	v_pk_mul_f32 v[126:127], v[36:37], v[126:127]              // 000000009BD8: D3B1407E 1802FD24
	v_pk_mul_f32 v[128:129], v[36:37], v[128:129]              // 000000009BE0: D3B14080 18030124
	v_pk_mul_f32 v[130:131], v[36:37], v[130:131]              // 000000009BE8: D3B14082 18030524
	v_pk_mul_f32 v[132:133], v[36:37], v[132:133]              // 000000009BF0: D3B14084 18030924
	v_pk_mul_f32 v[134:135], v[36:37], v[134:135]              // 000000009BF8: D3B14086 18030D24
	v_pk_mul_f32 v[136:137], v[36:37], v[136:137]              // 000000009C00: D3B14088 18031124
	v_pk_mul_f32 v[138:139], v[36:37], v[138:139]              // 000000009C08: D3B1408A 18031524
	v_pk_mul_f32 v[140:141], v[36:37], v[140:141]              // 000000009C10: D3B1408C 18031924
	v_pk_mul_f32 v[142:143], v[36:37], v[142:143]              // 000000009C18: D3B1408E 18031D24
	v_pk_mul_f32 v[144:145], v[36:37], v[144:145]              // 000000009C20: D3B14090 18032124
	v_pk_mul_f32 v[146:147], v[36:37], v[146:147]              // 000000009C28: D3B14092 18032524
	v_pk_mul_f32 v[148:149], v[36:37], v[148:149]              // 000000009C30: D3B14094 18032924
	v_pk_mul_f32 v[150:151], v[36:37], v[150:151]              // 000000009C38: D3B14096 18032D24
	v_pk_mul_f32 v[152:153], v[36:37], v[152:153]              // 000000009C40: D3B14098 18033124
	v_pk_mul_f32 v[154:155], v[36:37], v[154:155]              // 000000009C48: D3B1409A 18033524
	v_pk_mul_f32 v[156:157], v[36:37], v[156:157]              // 000000009C50: D3B1409C 18033924
	v_pk_mul_f32 v[158:159], v[36:37], v[158:159]              // 000000009C58: D3B1409E 18033D24
	v_pk_mul_f32 v[160:161], v[36:37], v[160:161]              // 000000009C60: D3B140A0 18034124
	v_pk_mul_f32 v[162:163], v[36:37], v[162:163]              // 000000009C68: D3B140A2 18034524
	v_pk_mul_f32 v[164:165], v[36:37], v[164:165]              // 000000009C70: D3B140A4 18034924
	v_pk_mul_f32 v[166:167], v[36:37], v[166:167]              // 000000009C78: D3B140A6 18034D24
	v_pk_mul_f32 v[168:169], v[36:37], v[168:169]              // 000000009C80: D3B140A8 18035124
	v_pk_mul_f32 v[170:171], v[36:37], v[170:171]              // 000000009C88: D3B140AA 18035524
	v_pk_mul_f32 v[172:173], v[36:37], v[172:173]              // 000000009C90: D3B140AC 18035924
	v_pk_mul_f32 v[174:175], v[36:37], v[174:175]              // 000000009C98: D3B140AE 18035D24
	v_pk_mul_f32 v[176:177], v[36:37], v[176:177]              // 000000009CA0: D3B140B0 18036124
	v_pk_mul_f32 v[178:179], v[36:37], v[178:179]              // 000000009CA8: D3B140B2 18036524
	v_pk_mul_f32 v[180:181], v[36:37], v[180:181]              // 000000009CB0: D3B140B4 18036924
	v_pk_mul_f32 v[182:183], v[36:37], v[182:183]              // 000000009CB8: D3B140B6 18036D24
	v_pk_mul_f32 v[184:185], v[36:37], v[184:185]              // 000000009CC0: D3B140B8 18037124
	v_pk_mul_f32 v[186:187], v[36:37], v[186:187]              // 000000009CC8: D3B140BA 18037524
	v_pk_mul_f32 v[188:189], v[36:37], v[188:189]              // 000000009CD0: D3B140BC 18037924
	v_pk_mul_f32 v[190:191], v[36:37], v[190:191]              // 000000009CD8: D3B140BE 18037D24
	v_pk_mul_f32 v[192:193], v[36:37], v[192:193]              // 000000009CE0: D3B140C0 18038124
	v_pk_mul_f32 v[194:195], v[36:37], v[194:195]              // 000000009CE8: D3B140C2 18038524
	v_pk_mul_f32 v[196:197], v[36:37], v[196:197]              // 000000009CF0: D3B140C4 18038924
	v_pk_mul_f32 v[198:199], v[36:37], v[198:199]              // 000000009CF8: D3B140C6 18038D24
	v_pk_mul_f32 v[200:201], v[36:37], v[200:201]              // 000000009D00: D3B140C8 18039124
	v_pk_mul_f32 v[202:203], v[36:37], v[202:203]              // 000000009D08: D3B140CA 18039524
	v_mfma_f32_32x32x64_f8f6f4 v[76:91], a[72:79], v[60:67], v[76:91]// 000000009D10: D3AE004C 0D327948
	v_mfma_f32_32x32x64_f8f6f4 v[92:107], a[80:87], v[60:67], v[92:107]// 000000009D18: D3AE005C 0D727950
	v_mfma_f32_32x32x64_f8f6f4 v[108:123], a[88:95], v[60:67], v[108:123]// 000000009D20: D3AE006C 0DB27958
	v_mfma_f32_32x32x64_f8f6f4 v[124:139], a[96:103], v[60:67], v[124:139]// 000000009D28: D3AE007C 0DF27960
	v_mfma_f32_32x32x64_f8f6f4 v[140:155], a[104:111], v[60:67], v[140:155]// 000000009D30: D3AE008C 0E327968
	v_mfma_f32_32x32x64_f8f6f4 v[156:171], a[112:119], v[60:67], v[156:171]// 000000009D38: D3AE009C 0E727970
	v_mfma_f32_32x32x64_f8f6f4 v[172:187], a[120:127], v[60:67], v[172:187]// 000000009D40: D3AE00AC 0EB27978
	v_mfma_f32_32x32x64_f8f6f4 v[188:203], a[128:135], v[60:67], v[188:203]// 000000009D48: D3AE00BC 0EF27980
	s_nop 8                                                    // 000000009D50: BF800008
	s_branch label_82C8                                        // 000000009D54: BF82025C

0000000000009d58 <label_7958>:
	s_waitcnt lgkmcnt(4)                                       // 000000009D58: BF8CC47F
	v_mfma_f32_32x32x64_f8f6f4 v[44:59], a[72:79], a[0:7], 0   // 000000009D5C: D3AE002C 1A020148
	v_mfma_f32_32x32x64_f8f6f4 v[44:59], a[80:87], a[8:15], v[44:59]// 000000009D64: D3AE002C 1CB21150
	v_mfma_f32_32x32x64_f8f6f4 v[44:59], a[88:95], a[16:23], v[44:59]// 000000009D6C: D3AE002C 1CB22158
	ds_read_b64_tr_b8 a[72:73], v9                             // 000000009D74: DBC40000 48000009
	ds_read_b64_tr_b8 a[74:75], v10                            // 000000009D7C: DBC40000 4A00000A
	ds_read_b64_tr_b8 a[76:77], v9 offset:18432                // 000000009D84: DBC44800 4C000009
	ds_read_b64_tr_b8 a[78:79], v10 offset:18432               // 000000009D8C: DBC44800 4E00000A
	v_mfma_f32_32x32x64_f8f6f4 v[44:59], a[96:103], a[24:31], v[44:59]// 000000009D94: D3AE002C 1CB23160
	ds_read_b64_tr_b8 a[80:81], v11                            // 000000009D9C: DBC40000 5000000B
	ds_read_b64_tr_b8 a[82:83], v12                            // 000000009DA4: DBC40000 5200000C
	ds_read_b64_tr_b8 a[84:85], v11 offset:18432               // 000000009DAC: DBC44800 5400000B
	ds_read_b64_tr_b8 a[86:87], v12 offset:18432               // 000000009DB4: DBC44800 5600000C
	v_mfma_f32_32x32x64_f8f6f4 v[44:59], a[104:111], a[32:39], v[44:59]// 000000009DBC: D3AE002C 1CB24168
	ds_read_b64_tr_b8 a[88:89], v9 offset:1024                 // 000000009DC4: DBC40400 58000009
	ds_read_b64_tr_b8 a[90:91], v10 offset:1024                // 000000009DCC: DBC40400 5A00000A
	ds_read_b64_tr_b8 a[92:93], v9 offset:19456                // 000000009DD4: DBC44C00 5C000009
	ds_read_b64_tr_b8 a[94:95], v10 offset:19456               // 000000009DDC: DBC44C00 5E00000A
	v_mfma_f32_32x32x64_f8f6f4 v[44:59], a[112:119], a[40:47], v[44:59]// 000000009DE4: D3AE002C 1CB25170
	ds_read_b64_tr_b8 a[96:97], v11 offset:1024                // 000000009DEC: DBC40400 6000000B
	ds_read_b64_tr_b8 a[98:99], v12 offset:1024                // 000000009DF4: DBC40400 6200000C
	ds_read_b64_tr_b8 a[100:101], v11 offset:19456             // 000000009DFC: DBC44C00 6400000B
	ds_read_b64_tr_b8 a[102:103], v12 offset:19456             // 000000009E04: DBC44C00 6600000C
	v_mfma_f32_32x32x64_f8f6f4 v[44:59], a[120:127], a[48:55], v[44:59]// 000000009E0C: D3AE002C 1CB26178
	ds_read_b64_tr_b8 a[104:105], v9 offset:2048               // 000000009E14: DBC40800 68000009
	ds_read_b64_tr_b8 a[106:107], v10 offset:2048              // 000000009E1C: DBC40800 6A00000A
	ds_read_b64_tr_b8 a[108:109], v9 offset:20480              // 000000009E24: DBC45000 6C000009
	ds_read_b64_tr_b8 a[110:111], v10 offset:20480             // 000000009E2C: DBC45000 6E00000A
	v_mfma_f32_32x32x64_f8f6f4 v[44:59], a[128:135], a[56:63], v[44:59]// 000000009E34: D3AE002C 1CB27180
	ds_read_b64_tr_b8 a[112:113], v11 offset:2048              // 000000009E3C: DBC40800 7000000B
	ds_read_b64_tr_b8 a[114:115], v12 offset:2048              // 000000009E44: DBC40800 7200000C
	ds_read_b64_tr_b8 a[116:117], v11 offset:20480             // 000000009E4C: DBC45000 7400000B
	ds_read_b64_tr_b8 a[118:119], v12 offset:20480             // 000000009E54: DBC45000 7600000C
	v_mfma_f32_32x32x64_f8f6f4 v[44:59], a[136:143], a[64:71], v[44:59]// 000000009E5C: D3AE002C 1CB28188
	ds_read_b64_tr_b8 a[120:121], v9 offset:3072               // 000000009E64: DBC40C00 78000009
	ds_read_b64_tr_b8 a[122:123], v10 offset:3072              // 000000009E6C: DBC40C00 7A00000A
	ds_read_b64_tr_b8 a[124:125], v9 offset:21504              // 000000009E74: DBC45400 7C000009
	ds_read_b64_tr_b8 a[126:127], v10 offset:21504             // 000000009E7C: DBC45400 7E00000A
	ds_read_b64_tr_b8 a[128:129], v11 offset:3072              // 000000009E84: DBC40C00 8000000B
	ds_read_b64_tr_b8 a[130:131], v12 offset:3072              // 000000009E8C: DBC40C00 8200000C
	ds_read_b64_tr_b8 a[132:133], v11 offset:21504             // 000000009E94: DBC45400 8400000B
	ds_read_b64_tr_b8 a[134:135], v12 offset:21504             // 000000009E9C: DBC45400 8600000C
	s_cmp_le_i32 s83, s82                                      // 000000009EA4: BF055253
	s_cbranch_scc1 label_7C78                                  // 000000009EA8: BF850073
	v_and_b32_e32 v35, 31, v0                                  // 000000009EAC: 2646009F
	v_lshrrev_b32_e32 v35, 3, v35                              // 000000009EB0: 20464683
	v_add_u32_e32 v35, s82, v35                                // 000000009EB4: 68464652
	s_and_b32 s56, 2, s7                                       // 000000009EB8: 86380782
	s_lshl_b32 s56, s56, 1                                     // 000000009EBC: 8E388138
	v_add_u32_e32 v35, s56, v35                                // 000000009EC0: 68464638
	s_sub_u32 s56, s83, 64                                     // 000000009EC4: 80B8C053
	v_lshrrev_b32_e32 v204, 5, v0                              // 000000009EC8: 21980085
	v_mul_i32_i24_e32 v204, 4, v204                            // 000000009ECC: 0D999884
	v_add_u32_e32 v204, s56, v204                              // 000000009ED0: 69999838
	s_and_b32 s56, s7, 1                                       // 000000009ED4: 86388107
	s_mov_b32 s57, 32                                          // 000000009ED8: BEB900A0
	s_mul_i32 s56, s57, s56                                    // 000000009EDC: 92383839
	v_add_u32_e32 v204, s56, v204                              // 000000009EE0: 69999838
	v_add_u32_e32 v205, 1, v204                                // 000000009EE4: 699B9881
	v_add_u32_e32 v206, 2, v204                                // 000000009EE8: 699D9882
	v_add_u32_e32 v207, 3, v204                                // 000000009EEC: 699F9883
	v_mov_b32_e32 v37, 0xff800000                              // 000000009EF0: 7E4A02FF FF800000
	v_cmp_le_i32_e64 s[36:37], v204, v35                       // 000000009EF8: D0C30024 000247CC
	s_nop 0                                                    // 000000009F00: BF800000
	v_cndmask_b32_e64 v44, v37, v44, s[36:37]                  // 000000009F04: D100002C 00925925
	v_add_u32_e32 v204, 8, v204                                // 000000009F0C: 69999888
	v_cmp_le_i32_e64 s[36:37], v205, v35                       // 000000009F10: D0C30024 000247CD
	s_nop 0                                                    // 000000009F18: BF800000
	v_cndmask_b32_e64 v45, v37, v45, s[36:37]                  // 000000009F1C: D100002D 00925B25
	v_add_u32_e32 v205, 8, v205                                // 000000009F24: 699B9A88
	v_cmp_le_i32_e64 s[36:37], v206, v35                       // 000000009F28: D0C30024 000247CE
	s_nop 0                                                    // 000000009F30: BF800000
	v_cndmask_b32_e64 v46, v37, v46, s[36:37]                  // 000000009F34: D100002E 00925D25
	v_add_u32_e32 v206, 8, v206                                // 000000009F3C: 699D9C88
	v_cmp_le_i32_e64 s[36:37], v207, v35                       // 000000009F40: D0C30024 000247CF
	s_nop 0                                                    // 000000009F48: BF800000
	v_cndmask_b32_e64 v47, v37, v47, s[36:37]                  // 000000009F4C: D100002F 00925F25
	v_add_u32_e32 v207, 8, v207                                // 000000009F54: 699F9E88
	v_cmp_le_i32_e64 s[36:37], v204, v35                       // 000000009F58: D0C30024 000247CC
	s_nop 0                                                    // 000000009F60: BF800000
	v_cndmask_b32_e64 v48, v37, v48, s[36:37]                  // 000000009F64: D1000030 00926125
	v_add_u32_e32 v204, 8, v204                                // 000000009F6C: 69999888
	v_cmp_le_i32_e64 s[36:37], v205, v35                       // 000000009F70: D0C30024 000247CD
	s_nop 0                                                    // 000000009F78: BF800000
	v_cndmask_b32_e64 v49, v37, v49, s[36:37]                  // 000000009F7C: D1000031 00926325
	v_add_u32_e32 v205, 8, v205                                // 000000009F84: 699B9A88
	v_cmp_le_i32_e64 s[36:37], v206, v35                       // 000000009F88: D0C30024 000247CE
	s_nop 0                                                    // 000000009F90: BF800000
	v_cndmask_b32_e64 v50, v37, v50, s[36:37]                  // 000000009F94: D1000032 00926525
	v_add_u32_e32 v206, 8, v206                                // 000000009F9C: 699D9C88
	v_cmp_le_i32_e64 s[36:37], v207, v35                       // 000000009FA0: D0C30024 000247CF
	s_nop 0                                                    // 000000009FA8: BF800000
	v_cndmask_b32_e64 v51, v37, v51, s[36:37]                  // 000000009FAC: D1000033 00926725
	v_add_u32_e32 v207, 8, v207                                // 000000009FB4: 699F9E88
	v_cmp_le_i32_e64 s[36:37], v204, v35                       // 000000009FB8: D0C30024 000247CC
	s_nop 0                                                    // 000000009FC0: BF800000
	v_cndmask_b32_e64 v52, v37, v52, s[36:37]                  // 000000009FC4: D1000034 00926925
	v_add_u32_e32 v204, 8, v204                                // 000000009FCC: 69999888
	v_cmp_le_i32_e64 s[36:37], v205, v35                       // 000000009FD0: D0C30024 000247CD
	s_nop 0                                                    // 000000009FD8: BF800000
	v_cndmask_b32_e64 v53, v37, v53, s[36:37]                  // 000000009FDC: D1000035 00926B25
	v_add_u32_e32 v205, 8, v205                                // 000000009FE4: 699B9A88
	v_cmp_le_i32_e64 s[36:37], v206, v35                       // 000000009FE8: D0C30024 000247CE
	s_nop 0                                                    // 000000009FF0: BF800000
	v_cndmask_b32_e64 v54, v37, v54, s[36:37]                  // 000000009FF4: D1000036 00926D25
	v_add_u32_e32 v206, 8, v206                                // 000000009FFC: 699D9C88
	v_cmp_le_i32_e64 s[36:37], v207, v35                       // 00000000A000: D0C30024 000247CF
	s_nop 0                                                    // 00000000A008: BF800000
	v_cndmask_b32_e64 v55, v37, v55, s[36:37]                  // 00000000A00C: D1000037 00926F25
	v_add_u32_e32 v207, 8, v207                                // 00000000A014: 699F9E88
	v_cmp_le_i32_e64 s[36:37], v204, v35                       // 00000000A018: D0C30024 000247CC
	s_nop 0                                                    // 00000000A020: BF800000
	v_cndmask_b32_e64 v56, v37, v56, s[36:37]                  // 00000000A024: D1000038 00927125
	v_add_u32_e32 v204, 8, v204                                // 00000000A02C: 69999888
	v_cmp_le_i32_e64 s[36:37], v205, v35                       // 00000000A030: D0C30024 000247CD
	s_nop 0                                                    // 00000000A038: BF800000
	v_cndmask_b32_e64 v57, v37, v57, s[36:37]                  // 00000000A03C: D1000039 00927325
	v_add_u32_e32 v205, 8, v205                                // 00000000A044: 699B9A88
	v_cmp_le_i32_e64 s[36:37], v206, v35                       // 00000000A048: D0C30024 000247CE
	s_nop 0                                                    // 00000000A050: BF800000
	v_cndmask_b32_e64 v58, v37, v58, s[36:37]                  // 00000000A054: D100003A 00927525
	v_add_u32_e32 v206, 8, v206                                // 00000000A05C: 699D9C88
	v_cmp_le_i32_e64 s[36:37], v207, v35                       // 00000000A060: D0C30024 000247CF
	s_nop 0                                                    // 00000000A068: BF800000
	v_cndmask_b32_e64 v59, v37, v59, s[36:37]                  // 00000000A06C: D100003B 00927725
	v_add_u32_e32 v207, 8, v207                                // 00000000A074: 699F9E88

000000000000a078 <label_7C78>:
	s_and_b32 s56, s48, 0xff                                   // 00000000A078: 8638FF30 000000FF
	v_mov_b32_e32 v36, s56                                     // 00000000A080: 7E480238
	v_lshrrev_b32_e32 v204, 5, v0                              // 00000000A084: 21980085
	v_mul_i32_i24_e32 v204, 4, v204                            // 00000000A088: 0D999884
	s_and_b32 s56, s7, 1                                       // 00000000A08C: 86388107
	s_mov_b32 s57, 32                                          // 00000000A090: BEB900A0
	s_mul_i32 s56, s57, s56                                    // 00000000A094: 92383839
	v_add_u32_e32 v204, s56, v204                              // 00000000A098: 69999838
	v_add_u32_e32 v205, 1, v204                                // 00000000A09C: 699B9881
	v_add_u32_e32 v206, 2, v204                                // 00000000A0A0: 699D9882
	v_add_u32_e32 v207, 3, v204                                // 00000000A0A4: 699F9883
	v_mov_b32_e32 v35, 0xff800000                              // 00000000A0A8: 7E4602FF FF800000
	v_cmp_lt_u32_e64 s[36:37], v204, v36                       // 00000000A0B0: D0C90024 000249CC
	v_add_u32_e32 v204, 8, v204                                // 00000000A0B8: 69999888
	s_nop 0                                                    // 00000000A0BC: BF800000
	v_cndmask_b32_e64 v44, v35, v44, s[36:37]                  // 00000000A0C0: D100002C 00925923
	v_cmp_lt_u32_e64 s[36:37], v205, v36                       // 00000000A0C8: D0C90024 000249CD
	v_add_u32_e32 v205, 8, v205                                // 00000000A0D0: 699B9A88
	s_nop 0                                                    // 00000000A0D4: BF800000
	v_cndmask_b32_e64 v45, v35, v45, s[36:37]                  // 00000000A0D8: D100002D 00925B23
	v_cmp_lt_u32_e64 s[36:37], v206, v36                       // 00000000A0E0: D0C90024 000249CE
	v_add_u32_e32 v206, 8, v206                                // 00000000A0E8: 699D9C88
	s_nop 0                                                    // 00000000A0EC: BF800000
	v_cndmask_b32_e64 v46, v35, v46, s[36:37]                  // 00000000A0F0: D100002E 00925D23
	v_cmp_lt_u32_e64 s[36:37], v207, v36                       // 00000000A0F8: D0C90024 000249CF
	v_add_u32_e32 v207, 8, v207                                // 00000000A100: 699F9E88
	s_nop 0                                                    // 00000000A104: BF800000
	v_cndmask_b32_e64 v47, v35, v47, s[36:37]                  // 00000000A108: D100002F 00925F23
	v_cmp_lt_u32_e64 s[36:37], v204, v36                       // 00000000A110: D0C90024 000249CC
	v_add_u32_e32 v204, 8, v204                                // 00000000A118: 69999888
	s_nop 0                                                    // 00000000A11C: BF800000
	v_cndmask_b32_e64 v48, v35, v48, s[36:37]                  // 00000000A120: D1000030 00926123
	v_cmp_lt_u32_e64 s[36:37], v205, v36                       // 00000000A128: D0C90024 000249CD
	v_add_u32_e32 v205, 8, v205                                // 00000000A130: 699B9A88
	s_nop 0                                                    // 00000000A134: BF800000
	v_cndmask_b32_e64 v49, v35, v49, s[36:37]                  // 00000000A138: D1000031 00926323
	v_cmp_lt_u32_e64 s[36:37], v206, v36                       // 00000000A140: D0C90024 000249CE
	v_add_u32_e32 v206, 8, v206                                // 00000000A148: 699D9C88
	s_nop 0                                                    // 00000000A14C: BF800000
	v_cndmask_b32_e64 v50, v35, v50, s[36:37]                  // 00000000A150: D1000032 00926523
	v_cmp_lt_u32_e64 s[36:37], v207, v36                       // 00000000A158: D0C90024 000249CF
	v_add_u32_e32 v207, 8, v207                                // 00000000A160: 699F9E88
	s_nop 0                                                    // 00000000A164: BF800000
	v_cndmask_b32_e64 v51, v35, v51, s[36:37]                  // 00000000A168: D1000033 00926723
	v_cmp_lt_u32_e64 s[36:37], v204, v36                       // 00000000A170: D0C90024 000249CC
	v_add_u32_e32 v204, 8, v204                                // 00000000A178: 69999888
	s_nop 0                                                    // 00000000A17C: BF800000
	v_cndmask_b32_e64 v52, v35, v52, s[36:37]                  // 00000000A180: D1000034 00926923
	v_cmp_lt_u32_e64 s[36:37], v205, v36                       // 00000000A188: D0C90024 000249CD
	v_add_u32_e32 v205, 8, v205                                // 00000000A190: 699B9A88
	s_nop 0                                                    // 00000000A194: BF800000
	v_cndmask_b32_e64 v53, v35, v53, s[36:37]                  // 00000000A198: D1000035 00926B23
	v_cmp_lt_u32_e64 s[36:37], v206, v36                       // 00000000A1A0: D0C90024 000249CE
	v_add_u32_e32 v206, 8, v206                                // 00000000A1A8: 699D9C88
	s_nop 0                                                    // 00000000A1AC: BF800000
	v_cndmask_b32_e64 v54, v35, v54, s[36:37]                  // 00000000A1B0: D1000036 00926D23
	v_cmp_lt_u32_e64 s[36:37], v207, v36                       // 00000000A1B8: D0C90024 000249CF
	v_add_u32_e32 v207, 8, v207                                // 00000000A1C0: 699F9E88
	s_nop 0                                                    // 00000000A1C4: BF800000
	v_cndmask_b32_e64 v55, v35, v55, s[36:37]                  // 00000000A1C8: D1000037 00926F23
	v_cmp_lt_u32_e64 s[36:37], v204, v36                       // 00000000A1D0: D0C90024 000249CC
	v_add_u32_e32 v204, 8, v204                                // 00000000A1D8: 69999888
	s_nop 0                                                    // 00000000A1DC: BF800000
	v_cndmask_b32_e64 v56, v35, v56, s[36:37]                  // 00000000A1E0: D1000038 00927123
	v_cmp_lt_u32_e64 s[36:37], v205, v36                       // 00000000A1E8: D0C90024 000249CD
	v_add_u32_e32 v205, 8, v205                                // 00000000A1F0: 699B9A88
	s_nop 0                                                    // 00000000A1F4: BF800000
	v_cndmask_b32_e64 v57, v35, v57, s[36:37]                  // 00000000A1F8: D1000039 00927323
	v_cmp_lt_u32_e64 s[36:37], v206, v36                       // 00000000A200: D0C90024 000249CE
	v_add_u32_e32 v206, 8, v206                                // 00000000A208: 699D9C88
	s_nop 0                                                    // 00000000A20C: BF800000
	v_cndmask_b32_e64 v58, v35, v58, s[36:37]                  // 00000000A210: D100003A 00927523
	v_cmp_lt_u32_e64 s[36:37], v207, v36                       // 00000000A218: D0C90024 000249CF
	v_add_u32_e32 v207, 8, v207                                // 00000000A220: 699F9E88
	s_nop 0                                                    // 00000000A224: BF800000
	v_cndmask_b32_e64 v59, v35, v59, s[36:37]                  // 00000000A228: D100003B 00927723
	s_nop 2                                                    // 00000000A230: BF800002
	v_mov_b32_e32 v213, v44                                    // 00000000A234: 7FAA032C
	v_max3_f32 v213, v44, v45, v213                            // 00000000A238: D1D300D5 07565B2C
	v_max3_f32 v213, v46, v47, v213                            // 00000000A240: D1D300D5 07565F2E
	v_max3_f32 v213, v48, v49, v213                            // 00000000A248: D1D300D5 07566330
	v_max3_f32 v213, v50, v51, v213                            // 00000000A250: D1D300D5 07566732
	v_max3_f32 v213, v52, v53, v213                            // 00000000A258: D1D300D5 07566B34
	v_max3_f32 v213, v54, v55, v213                            // 00000000A260: D1D300D5 07566F36
	v_max3_f32 v213, v56, v57, v213                            // 00000000A268: D1D300D5 07567338
	v_max3_f32 v213, v58, v59, v213                            // 00000000A270: D1D300D5 0756773A
	v_mov_b32_e32 v35, v213                                    // 00000000A278: 7E4603D5
	v_mov_b32_e32 v36, v213                                    // 00000000A27C: 7E4803D5
	s_nop 1                                                    // 00000000A280: BF800001
	v_permlane32_swap_b32_e32 v35, v36                         // 00000000A284: 7E46B524
	v_max3_f32 v213, v35, v36, v213                            // 00000000A288: D1D300D5 07564923
	ds_write_b32 v41, v213                                     // 00000000A290: D81A0000 0000D529
	s_waitcnt lgkmcnt(0)                                       // 00000000A298: BF8CC07F
	s_barrier                                                  // 00000000A29C: BF8A0000
	ds_read_b32 v35, v40                                       // 00000000A2A0: D86C0000 23000028
	ds_read_b32 v36, v40 offset:256                            // 00000000A2A8: D86C0100 24000028
	s_waitcnt lgkmcnt(0)                                       // 00000000A2B0: BF8CC07F
	v_max3_f32 v213, v35, v36, v213                            // 00000000A2B4: D1D300D5 07564923
	v_mov_b32_e32 v35, 0xff800000                              // 00000000A2BC: 7E4602FF FF800000
	v_cmp_eq_u32_e64 s[36:37], v35, v2                         // 00000000A2C4: D0CA0024 00020523
	v_max_f32_e32 v216, v213, v2                               // 00000000A2CC: 17B005D5
	v_sub_f32_e32 v21, v2, v216                                // 00000000A2D0: 042BB102
	v_cndmask_b32_e64 v21, v21, 0, s[36:37]                    // 00000000A2D4: D1000015 00910115
	v_mov_b32_e32 v2, v216                                     // 00000000A2DC: 7E0403D8
	v_mul_f32_e32 v212, s5, v216                               // 00000000A2E0: 0BA9B005
	v_mul_f32_e32 v21, s5, v21                                 // 00000000A2E4: 0A2A2A05
	v_exp_f32_e32 v21, v21                                     // 00000000A2E8: 7E2A4115
	v_fma_f32 v44, v44, s5, -v212                              // 00000000A2EC: D1CB002C 87500B2C
	v_fma_f32 v45, v45, s5, -v212                              // 00000000A2F4: D1CB002D 87500B2D
	v_fma_f32 v46, v46, s5, -v212                              // 00000000A2FC: D1CB002E 87500B2E
	v_fma_f32 v47, v47, s5, -v212                              // 00000000A304: D1CB002F 87500B2F
	v_fma_f32 v48, v48, s5, -v212                              // 00000000A30C: D1CB0030 87500B30
	v_fma_f32 v49, v49, s5, -v212                              // 00000000A314: D1CB0031 87500B31
	v_fma_f32 v50, v50, s5, -v212                              // 00000000A31C: D1CB0032 87500B32
	v_fma_f32 v51, v51, s5, -v212                              // 00000000A324: D1CB0033 87500B33
	v_fma_f32 v52, v52, s5, -v212                              // 00000000A32C: D1CB0034 87500B34
	v_fma_f32 v53, v53, s5, -v212                              // 00000000A334: D1CB0035 87500B35
	v_fma_f32 v54, v54, s5, -v212                              // 00000000A33C: D1CB0036 87500B36
	v_fma_f32 v55, v55, s5, -v212                              // 00000000A344: D1CB0037 87500B37
	v_fma_f32 v56, v56, s5, -v212                              // 00000000A34C: D1CB0038 87500B38
	v_fma_f32 v57, v57, s5, -v212                              // 00000000A354: D1CB0039 87500B39
	v_fma_f32 v58, v58, s5, -v212                              // 00000000A35C: D1CB003A 87500B3A
	v_fma_f32 v59, v59, s5, -v212                              // 00000000A364: D1CB003B 87500B3B
	v_mov_b32_e32 v35, 0xffc00000                              // 00000000A36C: 7E4602FF FFC00000
	v_exp_f32_e32 v44, v44                                     // 00000000A374: 7E58412C
	v_exp_f32_e32 v45, v45                                     // 00000000A378: 7E5A412D
	v_exp_f32_e32 v46, v46                                     // 00000000A37C: 7E5C412E
	v_exp_f32_e32 v47, v47                                     // 00000000A380: 7E5E412F
	v_exp_f32_e32 v48, v48                                     // 00000000A384: 7E604130
	v_exp_f32_e32 v49, v49                                     // 00000000A388: 7E624131
	v_exp_f32_e32 v50, v50                                     // 00000000A38C: 7E644132
	v_exp_f32_e32 v51, v51                                     // 00000000A390: 7E664133
	v_exp_f32_e32 v52, v52                                     // 00000000A394: 7E684134
	v_exp_f32_e32 v53, v53                                     // 00000000A398: 7E6A4135
	v_exp_f32_e32 v54, v54                                     // 00000000A39C: 7E6C4136
	v_exp_f32_e32 v55, v55                                     // 00000000A3A0: 7E6E4137
	v_exp_f32_e32 v56, v56                                     // 00000000A3A4: 7E704138
	v_exp_f32_e32 v57, v57                                     // 00000000A3A8: 7E724139
	v_exp_f32_e32 v58, v58                                     // 00000000A3AC: 7E74413A
	v_exp_f32_e32 v59, v59                                     // 00000000A3B0: 7E76413B
	v_mul_f32_e32 v4, v21, v4                                  // 00000000A3B4: 0A080915
	v_mov_b32_e32 v35, v44                                     // 00000000A3B8: 7E46032C
	v_add_f32_e32 v35, v45, v35                                // 00000000A3BC: 0246472D
	v_add_f32_e32 v35, v46, v35                                // 00000000A3C0: 0246472E
	v_add_f32_e32 v35, v47, v35                                // 00000000A3C4: 0246472F
	v_add_f32_e32 v35, v48, v35                                // 00000000A3C8: 02464730
	v_add_f32_e32 v35, v49, v35                                // 00000000A3CC: 02464731
	v_add_f32_e32 v35, v50, v35                                // 00000000A3D0: 02464732
	v_add_f32_e32 v35, v51, v35                                // 00000000A3D4: 02464733
	v_add_f32_e32 v35, v52, v35                                // 00000000A3D8: 02464734
	v_add_f32_e32 v35, v53, v35                                // 00000000A3DC: 02464735
	v_add_f32_e32 v35, v54, v35                                // 00000000A3E0: 02464736
	v_add_f32_e32 v35, v55, v35                                // 00000000A3E4: 02464737
	v_add_f32_e32 v35, v56, v35                                // 00000000A3E8: 02464738
	v_add_f32_e32 v35, v57, v35                                // 00000000A3EC: 02464739
	v_add_f32_e32 v35, v58, v35                                // 00000000A3F0: 0246473A
	v_add_f32_e32 v35, v59, v35                                // 00000000A3F4: 0246473B
	v_add_f32_e32 v4, v35, v4                                  // 00000000A3F8: 02080923
	v_cvt_pk_fp8_f32 v44, v44, v45                             // 00000000A3FC: D2A2002C 00025B2C
	v_cvt_pk_fp8_f32 v44, v46, v47 op_sel:[0,0,1]              // 00000000A404: D2A2402C 00025F2E
	v_cvt_pk_fp8_f32 v45, v48, v49                             // 00000000A40C: D2A2002D 00026330
	v_cvt_pk_fp8_f32 v45, v50, v51 op_sel:[0,0,1]              // 00000000A414: D2A2402D 00026732
	v_cvt_pk_fp8_f32 v46, v52, v53                             // 00000000A41C: D2A2002E 00026B34
	v_cvt_pk_fp8_f32 v46, v54, v55 op_sel:[0,0,1]              // 00000000A424: D2A2402E 00026F36
	v_cvt_pk_fp8_f32 v47, v56, v57                             // 00000000A42C: D2A2002F 00027338
	v_cvt_pk_fp8_f32 v47, v58, v59 op_sel:[0,0,1]              // 00000000A434: D2A2402F 0002773A
	ds_write_b128 v43, v[44:47] offset:1024                    // 00000000A43C: D9BE0400 00002C2B
	s_waitcnt lgkmcnt(0)                                       // 00000000A444: BF8CC07F
	s_barrier                                                  // 00000000A448: BF8A0000
	ds_read_b128 v[44:47], v42 offset:1024                     // 00000000A44C: D9FE0400 2C00002A
	ds_read_b128 v[48:51], v42 offset:2048                     // 00000000A454: D9FE0800 3000002A
	s_waitcnt lgkmcnt(0)                                       // 00000000A45C: BF8CC07F
	v_permlane32_swap_b32_e32 v44, v46                         // 00000000A460: 7E58B52E
	v_permlane32_swap_b32_e32 v45, v47                         // 00000000A464: 7E5AB52F
	v_swap_b32 v45, v46                                        // 00000000A468: 7E5AA32E
	v_permlane32_swap_b32_e32 v48, v50                         // 00000000A46C: 7E60B532
	v_permlane32_swap_b32_e32 v49, v51                         // 00000000A470: 7E62B533
	v_swap_b32 v49, v50                                        // 00000000A474: 7E62A332
	v_mov_b32_e32 v36, v21                                     // 00000000A478: 7E480315
	v_mov_b32_e32 v37, v21                                     // 00000000A47C: 7E4A0315
	v_pk_mul_f32 v[76:77], v[36:37], v[76:77]                  // 00000000A480: D3B1404C 18029924
	v_pk_mul_f32 v[78:79], v[36:37], v[78:79]                  // 00000000A488: D3B1404E 18029D24
	v_pk_mul_f32 v[80:81], v[36:37], v[80:81]                  // 00000000A490: D3B14050 1802A124
	v_pk_mul_f32 v[82:83], v[36:37], v[82:83]                  // 00000000A498: D3B14052 1802A524
	v_pk_mul_f32 v[84:85], v[36:37], v[84:85]                  // 00000000A4A0: D3B14054 1802A924
	v_pk_mul_f32 v[86:87], v[36:37], v[86:87]                  // 00000000A4A8: D3B14056 1802AD24
	v_pk_mul_f32 v[88:89], v[36:37], v[88:89]                  // 00000000A4B0: D3B14058 1802B124
	v_pk_mul_f32 v[90:91], v[36:37], v[90:91]                  // 00000000A4B8: D3B1405A 1802B524
	v_pk_mul_f32 v[92:93], v[36:37], v[92:93]                  // 00000000A4C0: D3B1405C 1802B924
	v_pk_mul_f32 v[94:95], v[36:37], v[94:95]                  // 00000000A4C8: D3B1405E 1802BD24
	v_pk_mul_f32 v[96:97], v[36:37], v[96:97]                  // 00000000A4D0: D3B14060 1802C124
	v_pk_mul_f32 v[98:99], v[36:37], v[98:99]                  // 00000000A4D8: D3B14062 1802C524
	v_pk_mul_f32 v[100:101], v[36:37], v[100:101]              // 00000000A4E0: D3B14064 1802C924
	v_pk_mul_f32 v[102:103], v[36:37], v[102:103]              // 00000000A4E8: D3B14066 1802CD24
	v_pk_mul_f32 v[104:105], v[36:37], v[104:105]              // 00000000A4F0: D3B14068 1802D124
	v_pk_mul_f32 v[106:107], v[36:37], v[106:107]              // 00000000A4F8: D3B1406A 1802D524
	v_pk_mul_f32 v[108:109], v[36:37], v[108:109]              // 00000000A500: D3B1406C 1802D924
	v_pk_mul_f32 v[110:111], v[36:37], v[110:111]              // 00000000A508: D3B1406E 1802DD24
	v_pk_mul_f32 v[112:113], v[36:37], v[112:113]              // 00000000A510: D3B14070 1802E124
	v_pk_mul_f32 v[114:115], v[36:37], v[114:115]              // 00000000A518: D3B14072 1802E524
	v_pk_mul_f32 v[116:117], v[36:37], v[116:117]              // 00000000A520: D3B14074 1802E924
	v_pk_mul_f32 v[118:119], v[36:37], v[118:119]              // 00000000A528: D3B14076 1802ED24
	v_pk_mul_f32 v[120:121], v[36:37], v[120:121]              // 00000000A530: D3B14078 1802F124
	v_pk_mul_f32 v[122:123], v[36:37], v[122:123]              // 00000000A538: D3B1407A 1802F524
	v_pk_mul_f32 v[124:125], v[36:37], v[124:125]              // 00000000A540: D3B1407C 1802F924
	v_pk_mul_f32 v[126:127], v[36:37], v[126:127]              // 00000000A548: D3B1407E 1802FD24
	v_pk_mul_f32 v[128:129], v[36:37], v[128:129]              // 00000000A550: D3B14080 18030124
	v_pk_mul_f32 v[130:131], v[36:37], v[130:131]              // 00000000A558: D3B14082 18030524
	v_pk_mul_f32 v[132:133], v[36:37], v[132:133]              // 00000000A560: D3B14084 18030924
	v_pk_mul_f32 v[134:135], v[36:37], v[134:135]              // 00000000A568: D3B14086 18030D24
	v_pk_mul_f32 v[136:137], v[36:37], v[136:137]              // 00000000A570: D3B14088 18031124
	v_pk_mul_f32 v[138:139], v[36:37], v[138:139]              // 00000000A578: D3B1408A 18031524
	v_pk_mul_f32 v[140:141], v[36:37], v[140:141]              // 00000000A580: D3B1408C 18031924
	v_pk_mul_f32 v[142:143], v[36:37], v[142:143]              // 00000000A588: D3B1408E 18031D24
	v_pk_mul_f32 v[144:145], v[36:37], v[144:145]              // 00000000A590: D3B14090 18032124
	v_pk_mul_f32 v[146:147], v[36:37], v[146:147]              // 00000000A598: D3B14092 18032524
	v_pk_mul_f32 v[148:149], v[36:37], v[148:149]              // 00000000A5A0: D3B14094 18032924
	v_pk_mul_f32 v[150:151], v[36:37], v[150:151]              // 00000000A5A8: D3B14096 18032D24
	v_pk_mul_f32 v[152:153], v[36:37], v[152:153]              // 00000000A5B0: D3B14098 18033124
	v_pk_mul_f32 v[154:155], v[36:37], v[154:155]              // 00000000A5B8: D3B1409A 18033524
	v_pk_mul_f32 v[156:157], v[36:37], v[156:157]              // 00000000A5C0: D3B1409C 18033924
	v_pk_mul_f32 v[158:159], v[36:37], v[158:159]              // 00000000A5C8: D3B1409E 18033D24
	v_pk_mul_f32 v[160:161], v[36:37], v[160:161]              // 00000000A5D0: D3B140A0 18034124
	v_pk_mul_f32 v[162:163], v[36:37], v[162:163]              // 00000000A5D8: D3B140A2 18034524
	v_pk_mul_f32 v[164:165], v[36:37], v[164:165]              // 00000000A5E0: D3B140A4 18034924
	v_pk_mul_f32 v[166:167], v[36:37], v[166:167]              // 00000000A5E8: D3B140A6 18034D24
	v_pk_mul_f32 v[168:169], v[36:37], v[168:169]              // 00000000A5F0: D3B140A8 18035124
	v_pk_mul_f32 v[170:171], v[36:37], v[170:171]              // 00000000A5F8: D3B140AA 18035524
	v_pk_mul_f32 v[172:173], v[36:37], v[172:173]              // 00000000A600: D3B140AC 18035924
	v_pk_mul_f32 v[174:175], v[36:37], v[174:175]              // 00000000A608: D3B140AE 18035D24
	v_pk_mul_f32 v[176:177], v[36:37], v[176:177]              // 00000000A610: D3B140B0 18036124
	v_pk_mul_f32 v[178:179], v[36:37], v[178:179]              // 00000000A618: D3B140B2 18036524
	v_pk_mul_f32 v[180:181], v[36:37], v[180:181]              // 00000000A620: D3B140B4 18036924
	v_pk_mul_f32 v[182:183], v[36:37], v[182:183]              // 00000000A628: D3B140B6 18036D24
	v_pk_mul_f32 v[184:185], v[36:37], v[184:185]              // 00000000A630: D3B140B8 18037124
	v_pk_mul_f32 v[186:187], v[36:37], v[186:187]              // 00000000A638: D3B140BA 18037524
	v_pk_mul_f32 v[188:189], v[36:37], v[188:189]              // 00000000A640: D3B140BC 18037924
	v_pk_mul_f32 v[190:191], v[36:37], v[190:191]              // 00000000A648: D3B140BE 18037D24
	v_pk_mul_f32 v[192:193], v[36:37], v[192:193]              // 00000000A650: D3B140C0 18038124
	v_pk_mul_f32 v[194:195], v[36:37], v[194:195]              // 00000000A658: D3B140C2 18038524
	v_pk_mul_f32 v[196:197], v[36:37], v[196:197]              // 00000000A660: D3B140C4 18038924
	v_pk_mul_f32 v[198:199], v[36:37], v[198:199]              // 00000000A668: D3B140C6 18038D24
	v_pk_mul_f32 v[200:201], v[36:37], v[200:201]              // 00000000A670: D3B140C8 18039124
	v_pk_mul_f32 v[202:203], v[36:37], v[202:203]              // 00000000A678: D3B140CA 18039524
	v_mfma_f32_32x32x64_f8f6f4 v[76:91], a[72:79], v[44:51], v[76:91]// 00000000A680: D3AE004C 0D325948
	v_mfma_f32_32x32x64_f8f6f4 v[92:107], a[80:87], v[44:51], v[92:107]// 00000000A688: D3AE005C 0D725950
	v_mfma_f32_32x32x64_f8f6f4 v[108:123], a[88:95], v[44:51], v[108:123]// 00000000A690: D3AE006C 0DB25958
	v_mfma_f32_32x32x64_f8f6f4 v[124:139], a[96:103], v[44:51], v[124:139]// 00000000A698: D3AE007C 0DF25960
	v_mfma_f32_32x32x64_f8f6f4 v[140:155], a[104:111], v[44:51], v[140:155]// 00000000A6A0: D3AE008C 0E325968
	v_mfma_f32_32x32x64_f8f6f4 v[156:171], a[112:119], v[44:51], v[156:171]// 00000000A6A8: D3AE009C 0E725970
	v_mfma_f32_32x32x64_f8f6f4 v[172:187], a[120:127], v[44:51], v[172:187]// 00000000A6B0: D3AE00AC 0EB25978
	v_mfma_f32_32x32x64_f8f6f4 v[188:203], a[128:135], v[44:51], v[188:203]// 00000000A6B8: D3AE00BC 0EF25980
	s_nop 8                                                    // 00000000A6C0: BF800008
	s_branch label_82C8                                        // 00000000A6C4: BF820000

000000000000a6c8 <label_82C8>:
	ds_write_b32 v41, v4                                       // 00000000A6C8: D81A0000 00000429
	s_waitcnt lgkmcnt(0)                                       // 00000000A6D0: BF8CC07F
	s_barrier                                                  // 00000000A6D4: BF8A0000
	ds_read_b32 v35, v40                                       // 00000000A6D8: D86C0000 23000028
	ds_read_b32 v37, v40 offset:256                            // 00000000A6E0: D86C0100 25000028
	s_waitcnt lgkmcnt(0)                                       // 00000000A6E8: BF8CC07F
	v_mov_b32_e32 v36, v35                                     // 00000000A6EC: 7E480323
	v_mov_b32_e32 v38, v37                                     // 00000000A6F0: 7E4C0325
	s_nop 0                                                    // 00000000A6F4: BF800000
	v_permlane32_swap_b32_e32 v35, v36                         // 00000000A6F8: 7E46B524
	v_permlane32_swap_b32_e32 v37, v38                         // 00000000A6FC: 7E4AB526
	v_mov_b32_e32 v4, 0                                        // 00000000A700: 7E080280
	v_add_f32_e32 v4, v35, v4                                  // 00000000A704: 02080923
	v_add_f32_e32 v4, v36, v4                                  // 00000000A708: 02080924
	v_add_f32_e32 v4, v37, v4                                  // 00000000A70C: 02080925
	v_add_f32_e32 v4, v38, v4                                  // 00000000A710: 02080926
	v_mov_b32_e32 v35, 0                                       // 00000000A714: 7E460280
	v_cmp_eq_u32_e64 s[36:37], v35, v4                         // 00000000A718: D0CA0024 00020923
	v_mul_f32_e64 v35, v2, s64                                 // 00000000A720: D1050023 00008102
	v_log_f32_e32 v36, v4                                      // 00000000A728: 7E484304
	s_nop 1                                                    // 00000000A72C: BF800001
	v_rcp_f32_e32 v4, v4                                       // 00000000A730: 7E084504
	s_nop 1                                                    // 00000000A734: BF800001
	v_fma_f32 v218, v36, s63, v35                              // 00000000A738: D1CB00DA 048C7F24
	v_mul_f32_e32 v4, s61, v4                                  // 00000000A740: 0A08083D
	v_mov_b32_e32 v44, v4                                      // 00000000A744: 7E580304
	v_mov_b32_e32 v45, v4                                      // 00000000A748: 7E5A0304
	v_pk_mul_f32 v[76:77], v[44:45], v[76:77]                  // 00000000A74C: D3B1404C 1802992C
	v_pk_mul_f32 v[78:79], v[44:45], v[78:79]                  // 00000000A754: D3B1404E 18029D2C
	v_pk_mul_f32 v[80:81], v[44:45], v[80:81]                  // 00000000A75C: D3B14050 1802A12C
	v_pk_mul_f32 v[82:83], v[44:45], v[82:83]                  // 00000000A764: D3B14052 1802A52C
	v_pk_mul_f32 v[84:85], v[44:45], v[84:85]                  // 00000000A76C: D3B14054 1802A92C
	v_pk_mul_f32 v[86:87], v[44:45], v[86:87]                  // 00000000A774: D3B14056 1802AD2C
	v_pk_mul_f32 v[88:89], v[44:45], v[88:89]                  // 00000000A77C: D3B14058 1802B12C
	v_pk_mul_f32 v[90:91], v[44:45], v[90:91]                  // 00000000A784: D3B1405A 1802B52C
	v_pk_mul_f32 v[92:93], v[44:45], v[92:93]                  // 00000000A78C: D3B1405C 1802B92C
	v_pk_mul_f32 v[94:95], v[44:45], v[94:95]                  // 00000000A794: D3B1405E 1802BD2C
	v_pk_mul_f32 v[96:97], v[44:45], v[96:97]                  // 00000000A79C: D3B14060 1802C12C
	v_pk_mul_f32 v[98:99], v[44:45], v[98:99]                  // 00000000A7A4: D3B14062 1802C52C
	v_pk_mul_f32 v[100:101], v[44:45], v[100:101]              // 00000000A7AC: D3B14064 1802C92C
	v_pk_mul_f32 v[102:103], v[44:45], v[102:103]              // 00000000A7B4: D3B14066 1802CD2C
	v_pk_mul_f32 v[104:105], v[44:45], v[104:105]              // 00000000A7BC: D3B14068 1802D12C
	v_pk_mul_f32 v[106:107], v[44:45], v[106:107]              // 00000000A7C4: D3B1406A 1802D52C
	v_pk_mul_f32 v[108:109], v[44:45], v[108:109]              // 00000000A7CC: D3B1406C 1802D92C
	v_pk_mul_f32 v[110:111], v[44:45], v[110:111]              // 00000000A7D4: D3B1406E 1802DD2C
	v_pk_mul_f32 v[112:113], v[44:45], v[112:113]              // 00000000A7DC: D3B14070 1802E12C
	v_pk_mul_f32 v[114:115], v[44:45], v[114:115]              // 00000000A7E4: D3B14072 1802E52C
	v_pk_mul_f32 v[116:117], v[44:45], v[116:117]              // 00000000A7EC: D3B14074 1802E92C
	v_pk_mul_f32 v[118:119], v[44:45], v[118:119]              // 00000000A7F4: D3B14076 1802ED2C
	v_pk_mul_f32 v[120:121], v[44:45], v[120:121]              // 00000000A7FC: D3B14078 1802F12C
	v_pk_mul_f32 v[122:123], v[44:45], v[122:123]              // 00000000A804: D3B1407A 1802F52C
	v_pk_mul_f32 v[124:125], v[44:45], v[124:125]              // 00000000A80C: D3B1407C 1802F92C
	v_pk_mul_f32 v[126:127], v[44:45], v[126:127]              // 00000000A814: D3B1407E 1802FD2C
	v_pk_mul_f32 v[128:129], v[44:45], v[128:129]              // 00000000A81C: D3B14080 1803012C
	v_pk_mul_f32 v[130:131], v[44:45], v[130:131]              // 00000000A824: D3B14082 1803052C
	v_pk_mul_f32 v[132:133], v[44:45], v[132:133]              // 00000000A82C: D3B14084 1803092C
	v_pk_mul_f32 v[134:135], v[44:45], v[134:135]              // 00000000A834: D3B14086 18030D2C
	v_pk_mul_f32 v[136:137], v[44:45], v[136:137]              // 00000000A83C: D3B14088 1803112C
	v_pk_mul_f32 v[138:139], v[44:45], v[138:139]              // 00000000A844: D3B1408A 1803152C
	v_pk_mul_f32 v[140:141], v[44:45], v[140:141]              // 00000000A84C: D3B1408C 1803192C
	v_pk_mul_f32 v[142:143], v[44:45], v[142:143]              // 00000000A854: D3B1408E 18031D2C
	v_pk_mul_f32 v[144:145], v[44:45], v[144:145]              // 00000000A85C: D3B14090 1803212C
	v_pk_mul_f32 v[146:147], v[44:45], v[146:147]              // 00000000A864: D3B14092 1803252C
	v_pk_mul_f32 v[148:149], v[44:45], v[148:149]              // 00000000A86C: D3B14094 1803292C
	v_pk_mul_f32 v[150:151], v[44:45], v[150:151]              // 00000000A874: D3B14096 18032D2C
	v_pk_mul_f32 v[152:153], v[44:45], v[152:153]              // 00000000A87C: D3B14098 1803312C
	v_pk_mul_f32 v[154:155], v[44:45], v[154:155]              // 00000000A884: D3B1409A 1803352C
	v_pk_mul_f32 v[156:157], v[44:45], v[156:157]              // 00000000A88C: D3B1409C 1803392C
	v_pk_mul_f32 v[158:159], v[44:45], v[158:159]              // 00000000A894: D3B1409E 18033D2C
	v_pk_mul_f32 v[160:161], v[44:45], v[160:161]              // 00000000A89C: D3B140A0 1803412C
	v_pk_mul_f32 v[162:163], v[44:45], v[162:163]              // 00000000A8A4: D3B140A2 1803452C
	v_pk_mul_f32 v[164:165], v[44:45], v[164:165]              // 00000000A8AC: D3B140A4 1803492C
	v_pk_mul_f32 v[166:167], v[44:45], v[166:167]              // 00000000A8B4: D3B140A6 18034D2C
	v_pk_mul_f32 v[168:169], v[44:45], v[168:169]              // 00000000A8BC: D3B140A8 1803512C
	v_pk_mul_f32 v[170:171], v[44:45], v[170:171]              // 00000000A8C4: D3B140AA 1803552C
	v_pk_mul_f32 v[172:173], v[44:45], v[172:173]              // 00000000A8CC: D3B140AC 1803592C
	v_pk_mul_f32 v[174:175], v[44:45], v[174:175]              // 00000000A8D4: D3B140AE 18035D2C
	v_pk_mul_f32 v[176:177], v[44:45], v[176:177]              // 00000000A8DC: D3B140B0 1803612C
	v_pk_mul_f32 v[178:179], v[44:45], v[178:179]              // 00000000A8E4: D3B140B2 1803652C
	v_pk_mul_f32 v[180:181], v[44:45], v[180:181]              // 00000000A8EC: D3B140B4 1803692C
	v_pk_mul_f32 v[182:183], v[44:45], v[182:183]              // 00000000A8F4: D3B140B6 18036D2C
	v_pk_mul_f32 v[184:185], v[44:45], v[184:185]              // 00000000A8FC: D3B140B8 1803712C
	v_pk_mul_f32 v[186:187], v[44:45], v[186:187]              // 00000000A904: D3B140BA 1803752C
	v_pk_mul_f32 v[188:189], v[44:45], v[188:189]              // 00000000A90C: D3B140BC 1803792C
	v_pk_mul_f32 v[190:191], v[44:45], v[190:191]              // 00000000A914: D3B140BE 18037D2C
	v_pk_mul_f32 v[192:193], v[44:45], v[192:193]              // 00000000A91C: D3B140C0 1803812C
	v_pk_mul_f32 v[194:195], v[44:45], v[194:195]              // 00000000A924: D3B140C2 1803852C
	v_pk_mul_f32 v[196:197], v[44:45], v[196:197]              // 00000000A92C: D3B140C4 1803892C
	v_pk_mul_f32 v[198:199], v[44:45], v[198:199]              // 00000000A934: D3B140C6 18038D2C
	v_pk_mul_f32 v[200:201], v[44:45], v[200:201]              // 00000000A93C: D3B140C8 1803912C
	v_pk_mul_f32 v[202:203], v[44:45], v[202:203]              // 00000000A944: D3B140CA 1803952C
	s_cmp_lt_i32 s87, 0                                        // 00000000A94C: BF048057
	s_cbranch_scc1 label_8D48                                  // 00000000A950: BF8501FD
	s_mul_i32 s75, 0x800, 8                                    // 00000000A954: 924B88FF 00000800
	s_mul_i32 s56, s87, s75                                    // 00000000A95C: 92384B57
	s_add_u32 s8, s56, s8                                      // 00000000A960: 80080838
	s_addc_u32 s9, 0, s9                                       // 00000000A964: 82090980
	s_mul_i32 s56, s75, s81                                    // 00000000A968: 9238514B
	s_mov_b32 s10, s56                                         // 00000000A96C: BE8A0038
	s_mov_b32 s57, 0x10000                                     // 00000000A970: BEB900FF 00010000
	s_lshr_b32 s56, s7, 1                                      // 00000000A978: 8F388107
	s_mul_i32 s56, s56, s57                                    // 00000000A97C: 92383938
	s_mov_b32 s58, 0x400                                       // 00000000A980: BEBA00FF 00000400
	s_and_b32 s57, 1, s7                                       // 00000000A988: 86390781
	s_mul_i32 s57, s57, s58                                    // 00000000A98C: 92393A39
	s_add_u32 s56, s56, s57                                    // 00000000A990: 80383938
	v_lshrrev_b32_e32 v219, 2, v0                              // 00000000A994: 21B60082
	s_mov_b32 s57, 0x800                                       // 00000000A998: BEB900FF 00000800
	v_mul_i32_i24_e32 v219, s57, v219                          // 00000000A9A0: 0DB7B639
	v_and_b32_e32 v35, 3, v0                                   // 00000000A9A4: 26460083
	v_lshlrev_b32_e32 v35, 4, v35                              // 00000000A9A8: 24464684
	v_add_u32_e32 v219, v35, v219                              // 00000000A9AC: 69B7B723
	v_add_u32_e32 v219, s56, v219                              // 00000000A9B0: 69B7B638
	s_mov_b32 s57, 0x8000                                      // 00000000A9B4: BEB900FF 00008000
	v_add_u32_e32 v220, s57, v219                              // 00000000A9BC: 69B9B639
	s_mul_i32 s57, 4, 8                                        // 00000000A9C0: 92398884
	s_mul_i32 s56, s87, s57                                    // 00000000A9C4: 92383957
	s_add_u32 s12, s56, s12                                    // 00000000A9C8: 800C0C38
	s_addc_u32 s13, 0, s13                                     // 00000000A9CC: 820D0D80
	s_mul_i32 s58, s57, s81                                    // 00000000A9D0: 923A5139
	s_mov_b32 s14, s58                                         // 00000000A9D4: BE8E003A
	v_and_b32_e32 v221, 31, v0                                 // 00000000A9D8: 27BA009F
	v_lshlrev_b32_e32 v221, 2, v221                            // 00000000A9DC: 25BBBA82
	s_mul_i32 s58, 4, 32                                       // 00000000A9E0: 923AA084
	s_lshr_b32 s56, s7, 1                                      // 00000000A9E4: 8F388107
	s_mul_i32 s56, s56, s58                                    // 00000000A9E8: 92383A38
	v_add_u32_e64 v221, v221, s56                              // 00000000A9EC: D13400DD 000071DD
	v_and_b32_e32 v35, 1, v0                                   // 00000000A9F4: 26460081
	v_lshlrev_b32_e32 v35, 5, v35                              // 00000000A9F8: 24464685
	v_and_b32_e32 v36, 3, v0                                   // 00000000A9FC: 26480083
	v_lshrrev_b32_e32 v36, 1, v36                              // 00000000AA00: 20484881
	v_lshlrev_b32_e32 v36, 4, v36                              // 00000000AA04: 24484884
	v_add_u32_e32 v35, v35, v36                                // 00000000AA08: 68464923
	v_lshrrev_b32_e32 v36, 2, v0                               // 00000000AA0C: 20480082
	v_add_u32_e32 v35, v35, v36                                // 00000000AA10: 68464923
	v_lshlrev_b32_e32 v35, 2, v35                              // 00000000AA14: 24464682
	v_lshlrev_b32_e32 v37, 4, v0                               // 00000000AA18: 244A0084
	v_permlane16_swap_b32_e32 v76, v80                         // 00000000AA1C: 7E98B350
	v_permlane16_swap_b32_e32 v77, v81                         // 00000000AA20: 7E9AB351
	v_permlane16_swap_b32_e32 v78, v82                         // 00000000AA24: 7E9CB352
	v_permlane16_swap_b32_e32 v79, v83                         // 00000000AA28: 7E9EB353
	ds_bpermute_b32 v44, v35, v76                              // 00000000AA2C: D87E0000 2C004C23
	ds_bpermute_b32 v45, v35, v77                              // 00000000AA34: D87E0000 2D004D23
	ds_bpermute_b32 v46, v35, v78                              // 00000000AA3C: D87E0000 2E004E23
	ds_bpermute_b32 v47, v35, v79                              // 00000000AA44: D87E0000 2F004F23
	ds_bpermute_b32 v48, v35, v80                              // 00000000AA4C: D87E0000 30005023
	ds_bpermute_b32 v49, v35, v81                              // 00000000AA54: D87E0000 31005123
	ds_bpermute_b32 v50, v35, v82                              // 00000000AA5C: D87E0000 32005223
	ds_bpermute_b32 v51, v35, v83                              // 00000000AA64: D87E0000 33005323
	v_permlane16_swap_b32_e32 v84, v88                         // 00000000AA6C: 7EA8B358
	v_permlane16_swap_b32_e32 v85, v89                         // 00000000AA70: 7EAAB359
	v_permlane16_swap_b32_e32 v86, v90                         // 00000000AA74: 7EACB35A
	v_permlane16_swap_b32_e32 v87, v91                         // 00000000AA78: 7EAEB35B
	ds_bpermute_b32 v52, v35, v84                              // 00000000AA7C: D87E0000 34005423
	ds_bpermute_b32 v53, v35, v85                              // 00000000AA84: D87E0000 35005523
	ds_bpermute_b32 v54, v35, v86                              // 00000000AA8C: D87E0000 36005623
	ds_bpermute_b32 v55, v35, v87                              // 00000000AA94: D87E0000 37005723
	ds_bpermute_b32 v56, v35, v88                              // 00000000AA9C: D87E0000 38005823
	ds_bpermute_b32 v57, v35, v89                              // 00000000AAA4: D87E0000 39005923
	ds_bpermute_b32 v58, v35, v90                              // 00000000AAAC: D87E0000 3A005A23
	ds_bpermute_b32 v59, v35, v91                              // 00000000AAB4: D87E0000 3B005B23
	s_waitcnt lgkmcnt(12)                                      // 00000000AABC: BF8CCC7F
	buffer_store_dwordx4 v[44:47], v219, s[8:11], 0 offen      // 00000000AAC0: E07C1000 80022CDB
	s_waitcnt lgkmcnt(8)                                       // 00000000AAC8: BF8CC87F
	buffer_store_dwordx4 v[48:51], v220, s[8:11], 0 offen      // 00000000AACC: E07C1000 800230DC
	s_mov_b32 s56, 64                                          // 00000000AAD4: BEB800C0
	v_add_u32_e32 v219, s56, v219                              // 00000000AAD8: 69B7B638
	v_add_u32_e32 v220, s56, v220                              // 00000000AADC: 69B9B838
	s_waitcnt lgkmcnt(4)                                       // 00000000AAE0: BF8CC47F
	buffer_store_dwordx4 v[52:55], v219, s[8:11], 0 offen      // 00000000AAE4: E07C1000 800234DB
	s_waitcnt lgkmcnt(0)                                       // 00000000AAEC: BF8CC07F
	buffer_store_dwordx4 v[56:59], v220, s[8:11], 0 offen      // 00000000AAF0: E07C1000 800238DC
	v_add_u32_e32 v219, s56, v219                              // 00000000AAF8: 69B7B638
	v_add_u32_e32 v220, s56, v220                              // 00000000AAFC: 69B9B838
	v_permlane16_swap_b32_e32 v92, v96                         // 00000000AB00: 7EB8B360
	v_permlane16_swap_b32_e32 v93, v97                         // 00000000AB04: 7EBAB361
	v_permlane16_swap_b32_e32 v94, v98                         // 00000000AB08: 7EBCB362
	v_permlane16_swap_b32_e32 v95, v99                         // 00000000AB0C: 7EBEB363
	ds_bpermute_b32 v44, v35, v92                              // 00000000AB10: D87E0000 2C005C23
	ds_bpermute_b32 v45, v35, v93                              // 00000000AB18: D87E0000 2D005D23
	ds_bpermute_b32 v46, v35, v94                              // 00000000AB20: D87E0000 2E005E23
	ds_bpermute_b32 v47, v35, v95                              // 00000000AB28: D87E0000 2F005F23
	ds_bpermute_b32 v48, v35, v96                              // 00000000AB30: D87E0000 30006023
	ds_bpermute_b32 v49, v35, v97                              // 00000000AB38: D87E0000 31006123
	ds_bpermute_b32 v50, v35, v98                              // 00000000AB40: D87E0000 32006223
	ds_bpermute_b32 v51, v35, v99                              // 00000000AB48: D87E0000 33006323
	v_permlane16_swap_b32_e32 v100, v104                       // 00000000AB50: 7EC8B368
	v_permlane16_swap_b32_e32 v101, v105                       // 00000000AB54: 7ECAB369
	v_permlane16_swap_b32_e32 v102, v106                       // 00000000AB58: 7ECCB36A
	v_permlane16_swap_b32_e32 v103, v107                       // 00000000AB5C: 7ECEB36B
	ds_bpermute_b32 v52, v35, v100                             // 00000000AB60: D87E0000 34006423
	ds_bpermute_b32 v53, v35, v101                             // 00000000AB68: D87E0000 35006523
	ds_bpermute_b32 v54, v35, v102                             // 00000000AB70: D87E0000 36006623
	ds_bpermute_b32 v55, v35, v103                             // 00000000AB78: D87E0000 37006723
	ds_bpermute_b32 v56, v35, v104                             // 00000000AB80: D87E0000 38006823
	ds_bpermute_b32 v57, v35, v105                             // 00000000AB88: D87E0000 39006923
	ds_bpermute_b32 v58, v35, v106                             // 00000000AB90: D87E0000 3A006A23
	ds_bpermute_b32 v59, v35, v107                             // 00000000AB98: D87E0000 3B006B23
	s_waitcnt lgkmcnt(12)                                      // 00000000ABA0: BF8CCC7F
	buffer_store_dwordx4 v[44:47], v219, s[8:11], 0 offen      // 00000000ABA4: E07C1000 80022CDB
	s_waitcnt lgkmcnt(8)                                       // 00000000ABAC: BF8CC87F
	buffer_store_dwordx4 v[48:51], v220, s[8:11], 0 offen      // 00000000ABB0: E07C1000 800230DC
	s_mov_b32 s56, 64                                          // 00000000ABB8: BEB800C0
	v_add_u32_e32 v219, s56, v219                              // 00000000ABBC: 69B7B638
	v_add_u32_e32 v220, s56, v220                              // 00000000ABC0: 69B9B838
	s_waitcnt lgkmcnt(4)                                       // 00000000ABC4: BF8CC47F
	buffer_store_dwordx4 v[52:55], v219, s[8:11], 0 offen      // 00000000ABC8: E07C1000 800234DB
	s_waitcnt lgkmcnt(0)                                       // 00000000ABD0: BF8CC07F
	buffer_store_dwordx4 v[56:59], v220, s[8:11], 0 offen      // 00000000ABD4: E07C1000 800238DC
	v_add_u32_e32 v219, s56, v219                              // 00000000ABDC: 69B7B638
	v_add_u32_e32 v220, s56, v220                              // 00000000ABE0: 69B9B838
	v_permlane16_swap_b32_e32 v108, v112                       // 00000000ABE4: 7ED8B370
	v_permlane16_swap_b32_e32 v109, v113                       // 00000000ABE8: 7EDAB371
	v_permlane16_swap_b32_e32 v110, v114                       // 00000000ABEC: 7EDCB372
	v_permlane16_swap_b32_e32 v111, v115                       // 00000000ABF0: 7EDEB373
	ds_bpermute_b32 v44, v35, v108                             // 00000000ABF4: D87E0000 2C006C23
	ds_bpermute_b32 v45, v35, v109                             // 00000000ABFC: D87E0000 2D006D23
	ds_bpermute_b32 v46, v35, v110                             // 00000000AC04: D87E0000 2E006E23
	ds_bpermute_b32 v47, v35, v111                             // 00000000AC0C: D87E0000 2F006F23
	ds_bpermute_b32 v48, v35, v112                             // 00000000AC14: D87E0000 30007023
	ds_bpermute_b32 v49, v35, v113                             // 00000000AC1C: D87E0000 31007123
	ds_bpermute_b32 v50, v35, v114                             // 00000000AC24: D87E0000 32007223
	ds_bpermute_b32 v51, v35, v115                             // 00000000AC2C: D87E0000 33007323
	v_permlane16_swap_b32_e32 v116, v120                       // 00000000AC34: 7EE8B378
	v_permlane16_swap_b32_e32 v117, v121                       // 00000000AC38: 7EEAB379
	v_permlane16_swap_b32_e32 v118, v122                       // 00000000AC3C: 7EECB37A
	v_permlane16_swap_b32_e32 v119, v123                       // 00000000AC40: 7EEEB37B
	ds_bpermute_b32 v52, v35, v116                             // 00000000AC44: D87E0000 34007423
	ds_bpermute_b32 v53, v35, v117                             // 00000000AC4C: D87E0000 35007523
	ds_bpermute_b32 v54, v35, v118                             // 00000000AC54: D87E0000 36007623
	ds_bpermute_b32 v55, v35, v119                             // 00000000AC5C: D87E0000 37007723
	ds_bpermute_b32 v56, v35, v120                             // 00000000AC64: D87E0000 38007823
	ds_bpermute_b32 v57, v35, v121                             // 00000000AC6C: D87E0000 39007923
	ds_bpermute_b32 v58, v35, v122                             // 00000000AC74: D87E0000 3A007A23
	ds_bpermute_b32 v59, v35, v123                             // 00000000AC7C: D87E0000 3B007B23
	s_waitcnt lgkmcnt(12)                                      // 00000000AC84: BF8CCC7F
	buffer_store_dwordx4 v[44:47], v219, s[8:11], 0 offen      // 00000000AC88: E07C1000 80022CDB
	s_waitcnt lgkmcnt(8)                                       // 00000000AC90: BF8CC87F
	buffer_store_dwordx4 v[48:51], v220, s[8:11], 0 offen      // 00000000AC94: E07C1000 800230DC
	s_mov_b32 s56, 64                                          // 00000000AC9C: BEB800C0
	v_add_u32_e32 v219, s56, v219                              // 00000000ACA0: 69B7B638
	v_add_u32_e32 v220, s56, v220                              // 00000000ACA4: 69B9B838
	s_waitcnt lgkmcnt(4)                                       // 00000000ACA8: BF8CC47F
	buffer_store_dwordx4 v[52:55], v219, s[8:11], 0 offen      // 00000000ACAC: E07C1000 800234DB
	s_waitcnt lgkmcnt(0)                                       // 00000000ACB4: BF8CC07F
	buffer_store_dwordx4 v[56:59], v220, s[8:11], 0 offen      // 00000000ACB8: E07C1000 800238DC
	v_add_u32_e32 v219, s56, v219                              // 00000000ACC0: 69B7B638
	v_add_u32_e32 v220, s56, v220                              // 00000000ACC4: 69B9B838
	v_permlane16_swap_b32_e32 v124, v128                       // 00000000ACC8: 7EF8B380
	v_permlane16_swap_b32_e32 v125, v129                       // 00000000ACCC: 7EFAB381
	v_permlane16_swap_b32_e32 v126, v130                       // 00000000ACD0: 7EFCB382
	v_permlane16_swap_b32_e32 v127, v131                       // 00000000ACD4: 7EFEB383
	ds_bpermute_b32 v44, v35, v124                             // 00000000ACD8: D87E0000 2C007C23
	ds_bpermute_b32 v45, v35, v125                             // 00000000ACE0: D87E0000 2D007D23
	ds_bpermute_b32 v46, v35, v126                             // 00000000ACE8: D87E0000 2E007E23
	ds_bpermute_b32 v47, v35, v127                             // 00000000ACF0: D87E0000 2F007F23
	ds_bpermute_b32 v48, v35, v128                             // 00000000ACF8: D87E0000 30008023
	ds_bpermute_b32 v49, v35, v129                             // 00000000AD00: D87E0000 31008123
	ds_bpermute_b32 v50, v35, v130                             // 00000000AD08: D87E0000 32008223
	ds_bpermute_b32 v51, v35, v131                             // 00000000AD10: D87E0000 33008323
	v_permlane16_swap_b32_e32 v132, v136                       // 00000000AD18: 7F08B388
	v_permlane16_swap_b32_e32 v133, v137                       // 00000000AD1C: 7F0AB389
	v_permlane16_swap_b32_e32 v134, v138                       // 00000000AD20: 7F0CB38A
	v_permlane16_swap_b32_e32 v135, v139                       // 00000000AD24: 7F0EB38B
	ds_bpermute_b32 v52, v35, v132                             // 00000000AD28: D87E0000 34008423
	ds_bpermute_b32 v53, v35, v133                             // 00000000AD30: D87E0000 35008523
	ds_bpermute_b32 v54, v35, v134                             // 00000000AD38: D87E0000 36008623
	ds_bpermute_b32 v55, v35, v135                             // 00000000AD40: D87E0000 37008723
	ds_bpermute_b32 v56, v35, v136                             // 00000000AD48: D87E0000 38008823
	ds_bpermute_b32 v57, v35, v137                             // 00000000AD50: D87E0000 39008923
	ds_bpermute_b32 v58, v35, v138                             // 00000000AD58: D87E0000 3A008A23
	ds_bpermute_b32 v59, v35, v139                             // 00000000AD60: D87E0000 3B008B23
	s_waitcnt lgkmcnt(12)                                      // 00000000AD68: BF8CCC7F
	buffer_store_dwordx4 v[44:47], v219, s[8:11], 0 offen      // 00000000AD6C: E07C1000 80022CDB
	s_waitcnt lgkmcnt(8)                                       // 00000000AD74: BF8CC87F
	buffer_store_dwordx4 v[48:51], v220, s[8:11], 0 offen      // 00000000AD78: E07C1000 800230DC
	s_mov_b32 s56, 64                                          // 00000000AD80: BEB800C0
	v_add_u32_e32 v219, s56, v219                              // 00000000AD84: 69B7B638
	v_add_u32_e32 v220, s56, v220                              // 00000000AD88: 69B9B838
	s_waitcnt lgkmcnt(4)                                       // 00000000AD8C: BF8CC47F
	buffer_store_dwordx4 v[52:55], v219, s[8:11], 0 offen      // 00000000AD90: E07C1000 800234DB
	s_waitcnt lgkmcnt(0)                                       // 00000000AD98: BF8CC07F
	buffer_store_dwordx4 v[56:59], v220, s[8:11], 0 offen      // 00000000AD9C: E07C1000 800238DC
	v_add_u32_e32 v219, s56, v219                              // 00000000ADA4: 69B7B638
	v_add_u32_e32 v220, s56, v220                              // 00000000ADA8: 69B9B838
	v_permlane16_swap_b32_e32 v140, v144                       // 00000000ADAC: 7F18B390
	v_permlane16_swap_b32_e32 v141, v145                       // 00000000ADB0: 7F1AB391
	v_permlane16_swap_b32_e32 v142, v146                       // 00000000ADB4: 7F1CB392
	v_permlane16_swap_b32_e32 v143, v147                       // 00000000ADB8: 7F1EB393
	ds_bpermute_b32 v44, v35, v140                             // 00000000ADBC: D87E0000 2C008C23
	ds_bpermute_b32 v45, v35, v141                             // 00000000ADC4: D87E0000 2D008D23
	ds_bpermute_b32 v46, v35, v142                             // 00000000ADCC: D87E0000 2E008E23
	ds_bpermute_b32 v47, v35, v143                             // 00000000ADD4: D87E0000 2F008F23
	ds_bpermute_b32 v48, v35, v144                             // 00000000ADDC: D87E0000 30009023
	ds_bpermute_b32 v49, v35, v145                             // 00000000ADE4: D87E0000 31009123
	ds_bpermute_b32 v50, v35, v146                             // 00000000ADEC: D87E0000 32009223
	ds_bpermute_b32 v51, v35, v147                             // 00000000ADF4: D87E0000 33009323
	v_permlane16_swap_b32_e32 v148, v152                       // 00000000ADFC: 7F28B398
	v_permlane16_swap_b32_e32 v149, v153                       // 00000000AE00: 7F2AB399
	v_permlane16_swap_b32_e32 v150, v154                       // 00000000AE04: 7F2CB39A
	v_permlane16_swap_b32_e32 v151, v155                       // 00000000AE08: 7F2EB39B
	ds_bpermute_b32 v52, v35, v148                             // 00000000AE0C: D87E0000 34009423
	ds_bpermute_b32 v53, v35, v149                             // 00000000AE14: D87E0000 35009523
	ds_bpermute_b32 v54, v35, v150                             // 00000000AE1C: D87E0000 36009623
	ds_bpermute_b32 v55, v35, v151                             // 00000000AE24: D87E0000 37009723
	ds_bpermute_b32 v56, v35, v152                             // 00000000AE2C: D87E0000 38009823
	ds_bpermute_b32 v57, v35, v153                             // 00000000AE34: D87E0000 39009923
	ds_bpermute_b32 v58, v35, v154                             // 00000000AE3C: D87E0000 3A009A23
	ds_bpermute_b32 v59, v35, v155                             // 00000000AE44: D87E0000 3B009B23
	s_waitcnt lgkmcnt(12)                                      // 00000000AE4C: BF8CCC7F
	buffer_store_dwordx4 v[44:47], v219, s[8:11], 0 offen      // 00000000AE50: E07C1000 80022CDB
	s_waitcnt lgkmcnt(8)                                       // 00000000AE58: BF8CC87F
	buffer_store_dwordx4 v[48:51], v220, s[8:11], 0 offen      // 00000000AE5C: E07C1000 800230DC
	s_mov_b32 s56, 64                                          // 00000000AE64: BEB800C0
	v_add_u32_e32 v219, s56, v219                              // 00000000AE68: 69B7B638
	v_add_u32_e32 v220, s56, v220                              // 00000000AE6C: 69B9B838
	s_waitcnt lgkmcnt(4)                                       // 00000000AE70: BF8CC47F
	buffer_store_dwordx4 v[52:55], v219, s[8:11], 0 offen      // 00000000AE74: E07C1000 800234DB
	s_waitcnt lgkmcnt(0)                                       // 00000000AE7C: BF8CC07F
	buffer_store_dwordx4 v[56:59], v220, s[8:11], 0 offen      // 00000000AE80: E07C1000 800238DC
	v_add_u32_e32 v219, s56, v219                              // 00000000AE88: 69B7B638
	v_add_u32_e32 v220, s56, v220                              // 00000000AE8C: 69B9B838
	v_permlane16_swap_b32_e32 v156, v160                       // 00000000AE90: 7F38B3A0
	v_permlane16_swap_b32_e32 v157, v161                       // 00000000AE94: 7F3AB3A1
	v_permlane16_swap_b32_e32 v158, v162                       // 00000000AE98: 7F3CB3A2
	v_permlane16_swap_b32_e32 v159, v163                       // 00000000AE9C: 7F3EB3A3
	ds_bpermute_b32 v44, v35, v156                             // 00000000AEA0: D87E0000 2C009C23
	ds_bpermute_b32 v45, v35, v157                             // 00000000AEA8: D87E0000 2D009D23
	ds_bpermute_b32 v46, v35, v158                             // 00000000AEB0: D87E0000 2E009E23
	ds_bpermute_b32 v47, v35, v159                             // 00000000AEB8: D87E0000 2F009F23
	ds_bpermute_b32 v48, v35, v160                             // 00000000AEC0: D87E0000 3000A023
	ds_bpermute_b32 v49, v35, v161                             // 00000000AEC8: D87E0000 3100A123
	ds_bpermute_b32 v50, v35, v162                             // 00000000AED0: D87E0000 3200A223
	ds_bpermute_b32 v51, v35, v163                             // 00000000AED8: D87E0000 3300A323
	v_permlane16_swap_b32_e32 v164, v168                       // 00000000AEE0: 7F48B3A8
	v_permlane16_swap_b32_e32 v165, v169                       // 00000000AEE4: 7F4AB3A9
	v_permlane16_swap_b32_e32 v166, v170                       // 00000000AEE8: 7F4CB3AA
	v_permlane16_swap_b32_e32 v167, v171                       // 00000000AEEC: 7F4EB3AB
	ds_bpermute_b32 v52, v35, v164                             // 00000000AEF0: D87E0000 3400A423
	ds_bpermute_b32 v53, v35, v165                             // 00000000AEF8: D87E0000 3500A523
	ds_bpermute_b32 v54, v35, v166                             // 00000000AF00: D87E0000 3600A623
	ds_bpermute_b32 v55, v35, v167                             // 00000000AF08: D87E0000 3700A723
	ds_bpermute_b32 v56, v35, v168                             // 00000000AF10: D87E0000 3800A823
	ds_bpermute_b32 v57, v35, v169                             // 00000000AF18: D87E0000 3900A923
	ds_bpermute_b32 v58, v35, v170                             // 00000000AF20: D87E0000 3A00AA23
	ds_bpermute_b32 v59, v35, v171                             // 00000000AF28: D87E0000 3B00AB23
	s_waitcnt lgkmcnt(12)                                      // 00000000AF30: BF8CCC7F
	buffer_store_dwordx4 v[44:47], v219, s[8:11], 0 offen      // 00000000AF34: E07C1000 80022CDB
	s_waitcnt lgkmcnt(8)                                       // 00000000AF3C: BF8CC87F
	buffer_store_dwordx4 v[48:51], v220, s[8:11], 0 offen      // 00000000AF40: E07C1000 800230DC
	s_mov_b32 s56, 64                                          // 00000000AF48: BEB800C0
	v_add_u32_e32 v219, s56, v219                              // 00000000AF4C: 69B7B638
	v_add_u32_e32 v220, s56, v220                              // 00000000AF50: 69B9B838
	s_waitcnt lgkmcnt(4)                                       // 00000000AF54: BF8CC47F
	buffer_store_dwordx4 v[52:55], v219, s[8:11], 0 offen      // 00000000AF58: E07C1000 800234DB
	s_waitcnt lgkmcnt(0)                                       // 00000000AF60: BF8CC07F
	buffer_store_dwordx4 v[56:59], v220, s[8:11], 0 offen      // 00000000AF64: E07C1000 800238DC
	v_add_u32_e32 v219, s56, v219                              // 00000000AF6C: 69B7B638
	v_add_u32_e32 v220, s56, v220                              // 00000000AF70: 69B9B838
	v_permlane16_swap_b32_e32 v172, v176                       // 00000000AF74: 7F58B3B0
	v_permlane16_swap_b32_e32 v173, v177                       // 00000000AF78: 7F5AB3B1
	v_permlane16_swap_b32_e32 v174, v178                       // 00000000AF7C: 7F5CB3B2
	v_permlane16_swap_b32_e32 v175, v179                       // 00000000AF80: 7F5EB3B3
	ds_bpermute_b32 v44, v35, v172                             // 00000000AF84: D87E0000 2C00AC23
	ds_bpermute_b32 v45, v35, v173                             // 00000000AF8C: D87E0000 2D00AD23
	ds_bpermute_b32 v46, v35, v174                             // 00000000AF94: D87E0000 2E00AE23
	ds_bpermute_b32 v47, v35, v175                             // 00000000AF9C: D87E0000 2F00AF23
	ds_bpermute_b32 v48, v35, v176                             // 00000000AFA4: D87E0000 3000B023
	ds_bpermute_b32 v49, v35, v177                             // 00000000AFAC: D87E0000 3100B123
	ds_bpermute_b32 v50, v35, v178                             // 00000000AFB4: D87E0000 3200B223
	ds_bpermute_b32 v51, v35, v179                             // 00000000AFBC: D87E0000 3300B323
	v_permlane16_swap_b32_e32 v180, v184                       // 00000000AFC4: 7F68B3B8
	v_permlane16_swap_b32_e32 v181, v185                       // 00000000AFC8: 7F6AB3B9
	v_permlane16_swap_b32_e32 v182, v186                       // 00000000AFCC: 7F6CB3BA
	v_permlane16_swap_b32_e32 v183, v187                       // 00000000AFD0: 7F6EB3BB
	ds_bpermute_b32 v52, v35, v180                             // 00000000AFD4: D87E0000 3400B423
	ds_bpermute_b32 v53, v35, v181                             // 00000000AFDC: D87E0000 3500B523
	ds_bpermute_b32 v54, v35, v182                             // 00000000AFE4: D87E0000 3600B623
	ds_bpermute_b32 v55, v35, v183                             // 00000000AFEC: D87E0000 3700B723
	ds_bpermute_b32 v56, v35, v184                             // 00000000AFF4: D87E0000 3800B823
	ds_bpermute_b32 v57, v35, v185                             // 00000000AFFC: D87E0000 3900B923
	ds_bpermute_b32 v58, v35, v186                             // 00000000B004: D87E0000 3A00BA23
	ds_bpermute_b32 v59, v35, v187                             // 00000000B00C: D87E0000 3B00BB23
	s_waitcnt lgkmcnt(12)                                      // 00000000B014: BF8CCC7F
	buffer_store_dwordx4 v[44:47], v219, s[8:11], 0 offen      // 00000000B018: E07C1000 80022CDB
	s_waitcnt lgkmcnt(8)                                       // 00000000B020: BF8CC87F
	buffer_store_dwordx4 v[48:51], v220, s[8:11], 0 offen      // 00000000B024: E07C1000 800230DC
	s_mov_b32 s56, 64                                          // 00000000B02C: BEB800C0
	v_add_u32_e32 v219, s56, v219                              // 00000000B030: 69B7B638
	v_add_u32_e32 v220, s56, v220                              // 00000000B034: 69B9B838
	s_waitcnt lgkmcnt(4)                                       // 00000000B038: BF8CC47F
	buffer_store_dwordx4 v[52:55], v219, s[8:11], 0 offen      // 00000000B03C: E07C1000 800234DB
	s_waitcnt lgkmcnt(0)                                       // 00000000B044: BF8CC07F
	buffer_store_dwordx4 v[56:59], v220, s[8:11], 0 offen      // 00000000B048: E07C1000 800238DC
	v_add_u32_e32 v219, s56, v219                              // 00000000B050: 69B7B638
	v_add_u32_e32 v220, s56, v220                              // 00000000B054: 69B9B838
	v_permlane16_swap_b32_e32 v188, v192                       // 00000000B058: 7F78B3C0
	v_permlane16_swap_b32_e32 v189, v193                       // 00000000B05C: 7F7AB3C1
	v_permlane16_swap_b32_e32 v190, v194                       // 00000000B060: 7F7CB3C2
	v_permlane16_swap_b32_e32 v191, v195                       // 00000000B064: 7F7EB3C3
	ds_bpermute_b32 v44, v35, v188                             // 00000000B068: D87E0000 2C00BC23
	ds_bpermute_b32 v45, v35, v189                             // 00000000B070: D87E0000 2D00BD23
	ds_bpermute_b32 v46, v35, v190                             // 00000000B078: D87E0000 2E00BE23
	ds_bpermute_b32 v47, v35, v191                             // 00000000B080: D87E0000 2F00BF23
	ds_bpermute_b32 v48, v35, v192                             // 00000000B088: D87E0000 3000C023
	ds_bpermute_b32 v49, v35, v193                             // 00000000B090: D87E0000 3100C123
	ds_bpermute_b32 v50, v35, v194                             // 00000000B098: D87E0000 3200C223
	ds_bpermute_b32 v51, v35, v195                             // 00000000B0A0: D87E0000 3300C323
	v_permlane16_swap_b32_e32 v196, v200                       // 00000000B0A8: 7F88B3C8
	v_permlane16_swap_b32_e32 v197, v201                       // 00000000B0AC: 7F8AB3C9
	v_permlane16_swap_b32_e32 v198, v202                       // 00000000B0B0: 7F8CB3CA
	v_permlane16_swap_b32_e32 v199, v203                       // 00000000B0B4: 7F8EB3CB
	ds_bpermute_b32 v52, v35, v196                             // 00000000B0B8: D87E0000 3400C423
	ds_bpermute_b32 v53, v35, v197                             // 00000000B0C0: D87E0000 3500C523
	ds_bpermute_b32 v54, v35, v198                             // 00000000B0C8: D87E0000 3600C623
	ds_bpermute_b32 v55, v35, v199                             // 00000000B0D0: D87E0000 3700C723
	ds_bpermute_b32 v56, v35, v200                             // 00000000B0D8: D87E0000 3800C823
	ds_bpermute_b32 v57, v35, v201                             // 00000000B0E0: D87E0000 3900C923
	ds_bpermute_b32 v58, v35, v202                             // 00000000B0E8: D87E0000 3A00CA23
	ds_bpermute_b32 v59, v35, v203                             // 00000000B0F0: D87E0000 3B00CB23
	s_waitcnt lgkmcnt(12)                                      // 00000000B0F8: BF8CCC7F
	buffer_store_dwordx4 v[44:47], v219, s[8:11], 0 offen      // 00000000B0FC: E07C1000 80022CDB
	s_waitcnt lgkmcnt(8)                                       // 00000000B104: BF8CC87F
	buffer_store_dwordx4 v[48:51], v220, s[8:11], 0 offen      // 00000000B108: E07C1000 800230DC
	s_mov_b32 s56, 64                                          // 00000000B110: BEB800C0
	v_add_u32_e32 v219, s56, v219                              // 00000000B114: 69B7B638
	v_add_u32_e32 v220, s56, v220                              // 00000000B118: 69B9B838
	s_waitcnt lgkmcnt(4)                                       // 00000000B11C: BF8CC47F
	buffer_store_dwordx4 v[52:55], v219, s[8:11], 0 offen      // 00000000B120: E07C1000 800234DB
	s_waitcnt lgkmcnt(0)                                       // 00000000B128: BF8CC07F
	buffer_store_dwordx4 v[56:59], v220, s[8:11], 0 offen      // 00000000B12C: E07C1000 800238DC
	v_add_u32_e32 v219, s56, v219                              // 00000000B134: 69B7B638
	v_add_u32_e32 v220, s56, v220                              // 00000000B138: 69B9B838
	buffer_store_dword v218, v221, s[12:15], 0 offen           // 00000000B13C: E0701000 8003DADD
	s_branch label_9458                                        // 00000000B144: BF8201C4

000000000000b148 <label_8D48>:
	s_mul_i32 s75, 0x400, 8                                    // 00000000B148: 924B88FF 00000400
	s_mov_b32 s56, s79                                         // 00000000B150: BEB8004F
	s_mul_i32 s56, s56, s75                                    // 00000000B154: 92384B38
	s_add_u32 s88, s56, s88                                    // 00000000B158: 80585838
	s_addc_u32 s89, 0, s89                                     // 00000000B15C: 82595980
	s_mul_i32 s56, s75, s81                                    // 00000000B160: 9238514B
	s_mov_b32 s90, s56                                         // 00000000B164: BEDA0038
	s_mov_b32 s57, 0x8000                                      // 00000000B168: BEB900FF 00008000
	s_lshr_b32 s56, s7, 1                                      // 00000000B170: 8F388107
	s_mul_i32 s56, s56, s57                                    // 00000000B174: 92383938
	s_mov_b32 s58, 0x200                                       // 00000000B178: BEBA00FF 00000200
	s_and_b32 s57, 1, s7                                       // 00000000B180: 86390781
	s_mul_i32 s57, s57, s58                                    // 00000000B184: 92393A39
	s_add_u32 s56, s56, s57                                    // 00000000B188: 80383938
	v_lshrrev_b32_e32 v219, 2, v0                              // 00000000B18C: 21B60082
	s_mov_b32 s57, 0x400                                       // 00000000B190: BEB900FF 00000400
	v_mul_i32_i24_e32 v219, s57, v219                          // 00000000B198: 0DB7B639
	v_and_b32_e32 v35, 3, v0                                   // 00000000B19C: 26460083
	v_lshlrev_b32_e32 v35, 4, v35                              // 00000000B1A0: 24464684
	v_add_u32_e32 v219, v35, v219                              // 00000000B1A4: 69B7B723
	v_add_u32_e32 v219, s56, v219                              // 00000000B1A8: 69B7B638
	s_mov_b32 s57, 0x4000                                      // 00000000B1AC: BEB900FF 00004000
	v_add_u32_e32 v220, s57, v219                              // 00000000B1B4: 69B9B639
	s_mul_i32 s57, 4, 8                                        // 00000000B1B8: 92398884
	s_mul_i32 s56, s67, s57                                    // 00000000B1BC: 92383943
	s_mul_i32 s56, s79, s56                                    // 00000000B1C0: 9238384F
	s_add_u32 s96, s56, s96                                    // 00000000B1C4: 80606038
	s_addc_u32 s97, 0, s97                                     // 00000000B1C8: 82616180
	v_and_b32_e32 v221, 31, v0                                 // 00000000B1CC: 27BA009F
	v_lshlrev_b32_e32 v221, 2, v221                            // 00000000B1D0: 25BBBA82
	s_mul_i32 s58, 4, 32                                       // 00000000B1D4: 923AA084
	s_lshr_b32 s56, s7, 1                                      // 00000000B1D8: 8F388107
	s_mul_i32 s56, s56, s58                                    // 00000000B1DC: 92383A38
	v_add_u32_e64 v221, v221, s56                              // 00000000B1E0: D13400DD 000071DD
	v_and_b32_e32 v35, 1, v0                                   // 00000000B1E8: 26460081
	v_lshlrev_b32_e32 v35, 5, v35                              // 00000000B1EC: 24464685
	v_and_b32_e32 v36, 3, v0                                   // 00000000B1F0: 26480083
	v_lshrrev_b32_e32 v36, 1, v36                              // 00000000B1F4: 20484881
	v_lshlrev_b32_e32 v36, 4, v36                              // 00000000B1F8: 24484884
	v_add_u32_e32 v35, v35, v36                                // 00000000B1FC: 68464923
	v_lshrrev_b32_e32 v36, 2, v0                               // 00000000B200: 20480082
	v_add_u32_e32 v35, v35, v36                                // 00000000B204: 68464923
	v_lshlrev_b32_e32 v35, 2, v35                              // 00000000B208: 24464682
	v_lshlrev_b32_e32 v37, 4, v0                               // 00000000B20C: 244A0084
	v_cvt_pk_bf16_f32 v76, v76, v77                            // 00000000B210: D268004C 00029B4C
	v_cvt_pk_bf16_f32 v77, v78, v79                            // 00000000B218: D268004D 00029F4E
	v_cvt_pk_bf16_f32 v78, v80, v81                            // 00000000B220: D268004E 0002A350
	v_cvt_pk_bf16_f32 v79, v82, v83                            // 00000000B228: D268004F 0002A752
	v_cvt_pk_bf16_f32 v80, v84, v85                            // 00000000B230: D2680050 0002AB54
	v_cvt_pk_bf16_f32 v81, v86, v87                            // 00000000B238: D2680051 0002AF56
	v_cvt_pk_bf16_f32 v82, v88, v89                            // 00000000B240: D2680052 0002B358
	v_cvt_pk_bf16_f32 v83, v90, v91                            // 00000000B248: D2680053 0002B75A
	v_permlane32_swap_b32_e32 v76, v78                         // 00000000B250: 7E98B54E
	v_permlane32_swap_b32_e32 v77, v79                         // 00000000B254: 7E9AB54F
	v_permlane32_swap_b32_e32 v80, v82                         // 00000000B258: 7EA0B552
	v_permlane32_swap_b32_e32 v81, v83                         // 00000000B25C: 7EA2B553
	s_nop 1                                                    // 00000000B260: BF800001
	v_permlane16_swap_b32_e32 v76, v80                         // 00000000B264: 7E98B350
	v_permlane16_swap_b32_e32 v77, v81                         // 00000000B268: 7E9AB351
	v_permlane16_swap_b32_e32 v78, v82                         // 00000000B26C: 7E9CB352
	v_permlane16_swap_b32_e32 v79, v83                         // 00000000B270: 7E9EB353
	ds_bpermute_b32 v44, v35, v76                              // 00000000B274: D87E0000 2C004C23
	ds_bpermute_b32 v45, v35, v77                              // 00000000B27C: D87E0000 2D004D23
	ds_bpermute_b32 v46, v35, v78                              // 00000000B284: D87E0000 2E004E23
	ds_bpermute_b32 v47, v35, v79                              // 00000000B28C: D87E0000 2F004F23
	ds_bpermute_b32 v48, v35, v80                              // 00000000B294: D87E0000 30005023
	ds_bpermute_b32 v49, v35, v81                              // 00000000B29C: D87E0000 31005123
	ds_bpermute_b32 v50, v35, v82                              // 00000000B2A4: D87E0000 32005223
	ds_bpermute_b32 v51, v35, v83                              // 00000000B2AC: D87E0000 33005323
	s_waitcnt lgkmcnt(4)                                       // 00000000B2B4: BF8CC47F
	buffer_store_dwordx4 v[44:47], v219, s[88:91], 0 offen     // 00000000B2B8: E07C1000 80162CDB
	s_mov_b32 s56, 64                                          // 00000000B2C0: BEB800C0
	v_add_u32_e32 v219, s56, v219                              // 00000000B2C4: 69B7B638
	s_waitcnt lgkmcnt(0)                                       // 00000000B2C8: BF8CC07F
	buffer_store_dwordx4 v[48:51], v220, s[88:91], 0 offen     // 00000000B2CC: E07C1000 801630DC
	v_add_u32_e32 v220, s56, v220                              // 00000000B2D4: 69B9B838
	v_cvt_pk_bf16_f32 v76, v92, v93                            // 00000000B2D8: D268004C 0002BB5C
	v_cvt_pk_bf16_f32 v77, v94, v95                            // 00000000B2E0: D268004D 0002BF5E
	v_cvt_pk_bf16_f32 v78, v96, v97                            // 00000000B2E8: D268004E 0002C360
	v_cvt_pk_bf16_f32 v79, v98, v99                            // 00000000B2F0: D268004F 0002C762
	v_cvt_pk_bf16_f32 v80, v100, v101                          // 00000000B2F8: D2680050 0002CB64
	v_cvt_pk_bf16_f32 v81, v102, v103                          // 00000000B300: D2680051 0002CF66
	v_cvt_pk_bf16_f32 v82, v104, v105                          // 00000000B308: D2680052 0002D368
	v_cvt_pk_bf16_f32 v83, v106, v107                          // 00000000B310: D2680053 0002D76A
	v_permlane32_swap_b32_e32 v76, v78                         // 00000000B318: 7E98B54E
	v_permlane32_swap_b32_e32 v77, v79                         // 00000000B31C: 7E9AB54F
	v_permlane32_swap_b32_e32 v80, v82                         // 00000000B320: 7EA0B552
	v_permlane32_swap_b32_e32 v81, v83                         // 00000000B324: 7EA2B553
	s_nop 1                                                    // 00000000B328: BF800001
	v_permlane16_swap_b32_e32 v76, v80                         // 00000000B32C: 7E98B350
	v_permlane16_swap_b32_e32 v77, v81                         // 00000000B330: 7E9AB351
	v_permlane16_swap_b32_e32 v78, v82                         // 00000000B334: 7E9CB352
	v_permlane16_swap_b32_e32 v79, v83                         // 00000000B338: 7E9EB353
	ds_bpermute_b32 v44, v35, v76                              // 00000000B33C: D87E0000 2C004C23
	ds_bpermute_b32 v45, v35, v77                              // 00000000B344: D87E0000 2D004D23
	ds_bpermute_b32 v46, v35, v78                              // 00000000B34C: D87E0000 2E004E23
	ds_bpermute_b32 v47, v35, v79                              // 00000000B354: D87E0000 2F004F23
	ds_bpermute_b32 v48, v35, v80                              // 00000000B35C: D87E0000 30005023
	ds_bpermute_b32 v49, v35, v81                              // 00000000B364: D87E0000 31005123
	ds_bpermute_b32 v50, v35, v82                              // 00000000B36C: D87E0000 32005223
	ds_bpermute_b32 v51, v35, v83                              // 00000000B374: D87E0000 33005323
	s_waitcnt lgkmcnt(4)                                       // 00000000B37C: BF8CC47F
	buffer_store_dwordx4 v[44:47], v219, s[88:91], 0 offen     // 00000000B380: E07C1000 80162CDB
	s_mov_b32 s56, 64                                          // 00000000B388: BEB800C0
	v_add_u32_e32 v219, s56, v219                              // 00000000B38C: 69B7B638
	s_waitcnt lgkmcnt(0)                                       // 00000000B390: BF8CC07F
	buffer_store_dwordx4 v[48:51], v220, s[88:91], 0 offen     // 00000000B394: E07C1000 801630DC
	v_add_u32_e32 v220, s56, v220                              // 00000000B39C: 69B9B838
	v_cvt_pk_bf16_f32 v76, v108, v109                          // 00000000B3A0: D268004C 0002DB6C
	v_cvt_pk_bf16_f32 v77, v110, v111                          // 00000000B3A8: D268004D 0002DF6E
	v_cvt_pk_bf16_f32 v78, v112, v113                          // 00000000B3B0: D268004E 0002E370
	v_cvt_pk_bf16_f32 v79, v114, v115                          // 00000000B3B8: D268004F 0002E772
	v_cvt_pk_bf16_f32 v80, v116, v117                          // 00000000B3C0: D2680050 0002EB74
	v_cvt_pk_bf16_f32 v81, v118, v119                          // 00000000B3C8: D2680051 0002EF76
	v_cvt_pk_bf16_f32 v82, v120, v121                          // 00000000B3D0: D2680052 0002F378
	v_cvt_pk_bf16_f32 v83, v122, v123                          // 00000000B3D8: D2680053 0002F77A
	v_permlane32_swap_b32_e32 v76, v78                         // 00000000B3E0: 7E98B54E
	v_permlane32_swap_b32_e32 v77, v79                         // 00000000B3E4: 7E9AB54F
	v_permlane32_swap_b32_e32 v80, v82                         // 00000000B3E8: 7EA0B552
	v_permlane32_swap_b32_e32 v81, v83                         // 00000000B3EC: 7EA2B553
	s_nop 1                                                    // 00000000B3F0: BF800001
	v_permlane16_swap_b32_e32 v76, v80                         // 00000000B3F4: 7E98B350
	v_permlane16_swap_b32_e32 v77, v81                         // 00000000B3F8: 7E9AB351
	v_permlane16_swap_b32_e32 v78, v82                         // 00000000B3FC: 7E9CB352
	v_permlane16_swap_b32_e32 v79, v83                         // 00000000B400: 7E9EB353
	ds_bpermute_b32 v44, v35, v76                              // 00000000B404: D87E0000 2C004C23
	ds_bpermute_b32 v45, v35, v77                              // 00000000B40C: D87E0000 2D004D23
	ds_bpermute_b32 v46, v35, v78                              // 00000000B414: D87E0000 2E004E23
	ds_bpermute_b32 v47, v35, v79                              // 00000000B41C: D87E0000 2F004F23
	ds_bpermute_b32 v48, v35, v80                              // 00000000B424: D87E0000 30005023
	ds_bpermute_b32 v49, v35, v81                              // 00000000B42C: D87E0000 31005123
	ds_bpermute_b32 v50, v35, v82                              // 00000000B434: D87E0000 32005223
	ds_bpermute_b32 v51, v35, v83                              // 00000000B43C: D87E0000 33005323
	s_waitcnt lgkmcnt(4)                                       // 00000000B444: BF8CC47F
	buffer_store_dwordx4 v[44:47], v219, s[88:91], 0 offen     // 00000000B448: E07C1000 80162CDB
	s_mov_b32 s56, 64                                          // 00000000B450: BEB800C0
	v_add_u32_e32 v219, s56, v219                              // 00000000B454: 69B7B638
	s_waitcnt lgkmcnt(0)                                       // 00000000B458: BF8CC07F
	buffer_store_dwordx4 v[48:51], v220, s[88:91], 0 offen     // 00000000B45C: E07C1000 801630DC
	v_add_u32_e32 v220, s56, v220                              // 00000000B464: 69B9B838
	v_cvt_pk_bf16_f32 v76, v124, v125                          // 00000000B468: D268004C 0002FB7C
	v_cvt_pk_bf16_f32 v77, v126, v127                          // 00000000B470: D268004D 0002FF7E
	v_cvt_pk_bf16_f32 v78, v128, v129                          // 00000000B478: D268004E 00030380
	v_cvt_pk_bf16_f32 v79, v130, v131                          // 00000000B480: D268004F 00030782
	v_cvt_pk_bf16_f32 v80, v132, v133                          // 00000000B488: D2680050 00030B84
	v_cvt_pk_bf16_f32 v81, v134, v135                          // 00000000B490: D2680051 00030F86
	v_cvt_pk_bf16_f32 v82, v136, v137                          // 00000000B498: D2680052 00031388
	v_cvt_pk_bf16_f32 v83, v138, v139                          // 00000000B4A0: D2680053 0003178A
	v_permlane32_swap_b32_e32 v76, v78                         // 00000000B4A8: 7E98B54E
	v_permlane32_swap_b32_e32 v77, v79                         // 00000000B4AC: 7E9AB54F
	v_permlane32_swap_b32_e32 v80, v82                         // 00000000B4B0: 7EA0B552
	v_permlane32_swap_b32_e32 v81, v83                         // 00000000B4B4: 7EA2B553
	s_nop 1                                                    // 00000000B4B8: BF800001
	v_permlane16_swap_b32_e32 v76, v80                         // 00000000B4BC: 7E98B350
	v_permlane16_swap_b32_e32 v77, v81                         // 00000000B4C0: 7E9AB351
	v_permlane16_swap_b32_e32 v78, v82                         // 00000000B4C4: 7E9CB352
	v_permlane16_swap_b32_e32 v79, v83                         // 00000000B4C8: 7E9EB353
	ds_bpermute_b32 v44, v35, v76                              // 00000000B4CC: D87E0000 2C004C23
	ds_bpermute_b32 v45, v35, v77                              // 00000000B4D4: D87E0000 2D004D23
	ds_bpermute_b32 v46, v35, v78                              // 00000000B4DC: D87E0000 2E004E23
	ds_bpermute_b32 v47, v35, v79                              // 00000000B4E4: D87E0000 2F004F23
	ds_bpermute_b32 v48, v35, v80                              // 00000000B4EC: D87E0000 30005023
	ds_bpermute_b32 v49, v35, v81                              // 00000000B4F4: D87E0000 31005123
	ds_bpermute_b32 v50, v35, v82                              // 00000000B4FC: D87E0000 32005223
	ds_bpermute_b32 v51, v35, v83                              // 00000000B504: D87E0000 33005323
	s_waitcnt lgkmcnt(4)                                       // 00000000B50C: BF8CC47F
	buffer_store_dwordx4 v[44:47], v219, s[88:91], 0 offen     // 00000000B510: E07C1000 80162CDB
	s_mov_b32 s56, 64                                          // 00000000B518: BEB800C0
	v_add_u32_e32 v219, s56, v219                              // 00000000B51C: 69B7B638
	s_waitcnt lgkmcnt(0)                                       // 00000000B520: BF8CC07F
	buffer_store_dwordx4 v[48:51], v220, s[88:91], 0 offen     // 00000000B524: E07C1000 801630DC
	v_add_u32_e32 v220, s56, v220                              // 00000000B52C: 69B9B838
	v_cvt_pk_bf16_f32 v76, v140, v141                          // 00000000B530: D268004C 00031B8C
	v_cvt_pk_bf16_f32 v77, v142, v143                          // 00000000B538: D268004D 00031F8E
	v_cvt_pk_bf16_f32 v78, v144, v145                          // 00000000B540: D268004E 00032390
	v_cvt_pk_bf16_f32 v79, v146, v147                          // 00000000B548: D268004F 00032792
	v_cvt_pk_bf16_f32 v80, v148, v149                          // 00000000B550: D2680050 00032B94
	v_cvt_pk_bf16_f32 v81, v150, v151                          // 00000000B558: D2680051 00032F96
	v_cvt_pk_bf16_f32 v82, v152, v153                          // 00000000B560: D2680052 00033398
	v_cvt_pk_bf16_f32 v83, v154, v155                          // 00000000B568: D2680053 0003379A
	v_permlane32_swap_b32_e32 v76, v78                         // 00000000B570: 7E98B54E
	v_permlane32_swap_b32_e32 v77, v79                         // 00000000B574: 7E9AB54F
	v_permlane32_swap_b32_e32 v80, v82                         // 00000000B578: 7EA0B552
	v_permlane32_swap_b32_e32 v81, v83                         // 00000000B57C: 7EA2B553
	s_nop 1                                                    // 00000000B580: BF800001
	v_permlane16_swap_b32_e32 v76, v80                         // 00000000B584: 7E98B350
	v_permlane16_swap_b32_e32 v77, v81                         // 00000000B588: 7E9AB351
	v_permlane16_swap_b32_e32 v78, v82                         // 00000000B58C: 7E9CB352
	v_permlane16_swap_b32_e32 v79, v83                         // 00000000B590: 7E9EB353
	ds_bpermute_b32 v44, v35, v76                              // 00000000B594: D87E0000 2C004C23
	ds_bpermute_b32 v45, v35, v77                              // 00000000B59C: D87E0000 2D004D23
	ds_bpermute_b32 v46, v35, v78                              // 00000000B5A4: D87E0000 2E004E23
	ds_bpermute_b32 v47, v35, v79                              // 00000000B5AC: D87E0000 2F004F23
	ds_bpermute_b32 v48, v35, v80                              // 00000000B5B4: D87E0000 30005023
	ds_bpermute_b32 v49, v35, v81                              // 00000000B5BC: D87E0000 31005123
	ds_bpermute_b32 v50, v35, v82                              // 00000000B5C4: D87E0000 32005223
	ds_bpermute_b32 v51, v35, v83                              // 00000000B5CC: D87E0000 33005323
	s_waitcnt lgkmcnt(4)                                       // 00000000B5D4: BF8CC47F
	buffer_store_dwordx4 v[44:47], v219, s[88:91], 0 offen     // 00000000B5D8: E07C1000 80162CDB
	s_mov_b32 s56, 64                                          // 00000000B5E0: BEB800C0
	v_add_u32_e32 v219, s56, v219                              // 00000000B5E4: 69B7B638
	s_waitcnt lgkmcnt(0)                                       // 00000000B5E8: BF8CC07F
	buffer_store_dwordx4 v[48:51], v220, s[88:91], 0 offen     // 00000000B5EC: E07C1000 801630DC
	v_add_u32_e32 v220, s56, v220                              // 00000000B5F4: 69B9B838
	v_cvt_pk_bf16_f32 v76, v156, v157                          // 00000000B5F8: D268004C 00033B9C
	v_cvt_pk_bf16_f32 v77, v158, v159                          // 00000000B600: D268004D 00033F9E
	v_cvt_pk_bf16_f32 v78, v160, v161                          // 00000000B608: D268004E 000343A0
	v_cvt_pk_bf16_f32 v79, v162, v163                          // 00000000B610: D268004F 000347A2
	v_cvt_pk_bf16_f32 v80, v164, v165                          // 00000000B618: D2680050 00034BA4
	v_cvt_pk_bf16_f32 v81, v166, v167                          // 00000000B620: D2680051 00034FA6
	v_cvt_pk_bf16_f32 v82, v168, v169                          // 00000000B628: D2680052 000353A8
	v_cvt_pk_bf16_f32 v83, v170, v171                          // 00000000B630: D2680053 000357AA
	v_permlane32_swap_b32_e32 v76, v78                         // 00000000B638: 7E98B54E
	v_permlane32_swap_b32_e32 v77, v79                         // 00000000B63C: 7E9AB54F
	v_permlane32_swap_b32_e32 v80, v82                         // 00000000B640: 7EA0B552
	v_permlane32_swap_b32_e32 v81, v83                         // 00000000B644: 7EA2B553
	s_nop 1                                                    // 00000000B648: BF800001
	v_permlane16_swap_b32_e32 v76, v80                         // 00000000B64C: 7E98B350
	v_permlane16_swap_b32_e32 v77, v81                         // 00000000B650: 7E9AB351
	v_permlane16_swap_b32_e32 v78, v82                         // 00000000B654: 7E9CB352
	v_permlane16_swap_b32_e32 v79, v83                         // 00000000B658: 7E9EB353
	ds_bpermute_b32 v44, v35, v76                              // 00000000B65C: D87E0000 2C004C23
	ds_bpermute_b32 v45, v35, v77                              // 00000000B664: D87E0000 2D004D23
	ds_bpermute_b32 v46, v35, v78                              // 00000000B66C: D87E0000 2E004E23
	ds_bpermute_b32 v47, v35, v79                              // 00000000B674: D87E0000 2F004F23
	ds_bpermute_b32 v48, v35, v80                              // 00000000B67C: D87E0000 30005023
	ds_bpermute_b32 v49, v35, v81                              // 00000000B684: D87E0000 31005123
	ds_bpermute_b32 v50, v35, v82                              // 00000000B68C: D87E0000 32005223
	ds_bpermute_b32 v51, v35, v83                              // 00000000B694: D87E0000 33005323
	s_waitcnt lgkmcnt(4)                                       // 00000000B69C: BF8CC47F
	buffer_store_dwordx4 v[44:47], v219, s[88:91], 0 offen     // 00000000B6A0: E07C1000 80162CDB
	s_mov_b32 s56, 64                                          // 00000000B6A8: BEB800C0
	v_add_u32_e32 v219, s56, v219                              // 00000000B6AC: 69B7B638
	s_waitcnt lgkmcnt(0)                                       // 00000000B6B0: BF8CC07F
	buffer_store_dwordx4 v[48:51], v220, s[88:91], 0 offen     // 00000000B6B4: E07C1000 801630DC
	v_add_u32_e32 v220, s56, v220                              // 00000000B6BC: 69B9B838
	v_cvt_pk_bf16_f32 v76, v172, v173                          // 00000000B6C0: D268004C 00035BAC
	v_cvt_pk_bf16_f32 v77, v174, v175                          // 00000000B6C8: D268004D 00035FAE
	v_cvt_pk_bf16_f32 v78, v176, v177                          // 00000000B6D0: D268004E 000363B0
	v_cvt_pk_bf16_f32 v79, v178, v179                          // 00000000B6D8: D268004F 000367B2
	v_cvt_pk_bf16_f32 v80, v180, v181                          // 00000000B6E0: D2680050 00036BB4
	v_cvt_pk_bf16_f32 v81, v182, v183                          // 00000000B6E8: D2680051 00036FB6
	v_cvt_pk_bf16_f32 v82, v184, v185                          // 00000000B6F0: D2680052 000373B8
	v_cvt_pk_bf16_f32 v83, v186, v187                          // 00000000B6F8: D2680053 000377BA
	v_permlane32_swap_b32_e32 v76, v78                         // 00000000B700: 7E98B54E
	v_permlane32_swap_b32_e32 v77, v79                         // 00000000B704: 7E9AB54F
	v_permlane32_swap_b32_e32 v80, v82                         // 00000000B708: 7EA0B552
	v_permlane32_swap_b32_e32 v81, v83                         // 00000000B70C: 7EA2B553
	s_nop 1                                                    // 00000000B710: BF800001
	v_permlane16_swap_b32_e32 v76, v80                         // 00000000B714: 7E98B350
	v_permlane16_swap_b32_e32 v77, v81                         // 00000000B718: 7E9AB351
	v_permlane16_swap_b32_e32 v78, v82                         // 00000000B71C: 7E9CB352
	v_permlane16_swap_b32_e32 v79, v83                         // 00000000B720: 7E9EB353
	ds_bpermute_b32 v44, v35, v76                              // 00000000B724: D87E0000 2C004C23
	ds_bpermute_b32 v45, v35, v77                              // 00000000B72C: D87E0000 2D004D23
	ds_bpermute_b32 v46, v35, v78                              // 00000000B734: D87E0000 2E004E23
	ds_bpermute_b32 v47, v35, v79                              // 00000000B73C: D87E0000 2F004F23
	ds_bpermute_b32 v48, v35, v80                              // 00000000B744: D87E0000 30005023
	ds_bpermute_b32 v49, v35, v81                              // 00000000B74C: D87E0000 31005123
	ds_bpermute_b32 v50, v35, v82                              // 00000000B754: D87E0000 32005223
	ds_bpermute_b32 v51, v35, v83                              // 00000000B75C: D87E0000 33005323
	s_waitcnt lgkmcnt(4)                                       // 00000000B764: BF8CC47F
	buffer_store_dwordx4 v[44:47], v219, s[88:91], 0 offen     // 00000000B768: E07C1000 80162CDB
	s_mov_b32 s56, 64                                          // 00000000B770: BEB800C0
	v_add_u32_e32 v219, s56, v219                              // 00000000B774: 69B7B638
	s_waitcnt lgkmcnt(0)                                       // 00000000B778: BF8CC07F
	buffer_store_dwordx4 v[48:51], v220, s[88:91], 0 offen     // 00000000B77C: E07C1000 801630DC
	v_add_u32_e32 v220, s56, v220                              // 00000000B784: 69B9B838
	v_cvt_pk_bf16_f32 v76, v188, v189                          // 00000000B788: D268004C 00037BBC
	v_cvt_pk_bf16_f32 v77, v190, v191                          // 00000000B790: D268004D 00037FBE
	v_cvt_pk_bf16_f32 v78, v192, v193                          // 00000000B798: D268004E 000383C0
	v_cvt_pk_bf16_f32 v79, v194, v195                          // 00000000B7A0: D268004F 000387C2
	v_cvt_pk_bf16_f32 v80, v196, v197                          // 00000000B7A8: D2680050 00038BC4
	v_cvt_pk_bf16_f32 v81, v198, v199                          // 00000000B7B0: D2680051 00038FC6
	v_cvt_pk_bf16_f32 v82, v200, v201                          // 00000000B7B8: D2680052 000393C8
	v_cvt_pk_bf16_f32 v83, v202, v203                          // 00000000B7C0: D2680053 000397CA
	v_permlane32_swap_b32_e32 v76, v78                         // 00000000B7C8: 7E98B54E
	v_permlane32_swap_b32_e32 v77, v79                         // 00000000B7CC: 7E9AB54F
	v_permlane32_swap_b32_e32 v80, v82                         // 00000000B7D0: 7EA0B552
	v_permlane32_swap_b32_e32 v81, v83                         // 00000000B7D4: 7EA2B553
	s_nop 1                                                    // 00000000B7D8: BF800001
	v_permlane16_swap_b32_e32 v76, v80                         // 00000000B7DC: 7E98B350
	v_permlane16_swap_b32_e32 v77, v81                         // 00000000B7E0: 7E9AB351
	v_permlane16_swap_b32_e32 v78, v82                         // 00000000B7E4: 7E9CB352
	v_permlane16_swap_b32_e32 v79, v83                         // 00000000B7E8: 7E9EB353
	ds_bpermute_b32 v44, v35, v76                              // 00000000B7EC: D87E0000 2C004C23
	ds_bpermute_b32 v45, v35, v77                              // 00000000B7F4: D87E0000 2D004D23
	ds_bpermute_b32 v46, v35, v78                              // 00000000B7FC: D87E0000 2E004E23
	ds_bpermute_b32 v47, v35, v79                              // 00000000B804: D87E0000 2F004F23
	ds_bpermute_b32 v48, v35, v80                              // 00000000B80C: D87E0000 30005023
	ds_bpermute_b32 v49, v35, v81                              // 00000000B814: D87E0000 31005123
	ds_bpermute_b32 v50, v35, v82                              // 00000000B81C: D87E0000 32005223
	ds_bpermute_b32 v51, v35, v83                              // 00000000B824: D87E0000 33005323
	s_waitcnt lgkmcnt(4)                                       // 00000000B82C: BF8CC47F
	buffer_store_dwordx4 v[44:47], v219, s[88:91], 0 offen     // 00000000B830: E07C1000 80162CDB
	s_mov_b32 s56, 64                                          // 00000000B838: BEB800C0
	v_add_u32_e32 v219, s56, v219                              // 00000000B83C: 69B7B638
	s_waitcnt lgkmcnt(0)                                       // 00000000B840: BF8CC07F
	buffer_store_dwordx4 v[48:51], v220, s[88:91], 0 offen     // 00000000B844: E07C1000 801630DC
	v_add_u32_e32 v220, s56, v220                              // 00000000B84C: 69B9B838
	buffer_store_dword v218, v221, s[96:99], 0 offen           // 00000000B850: E0701000 8018DADD

000000000000b858 <label_9458>:
	s_mov_b32 s56, 32                                          // 00000000B858: BEB800A0
	s_addk_i32 s85, 0x1                                        // 00000000B85C: B7550001
	s_cmp_lt_i32 s85, s86                                      // 00000000B860: BF045655
	s_cbranch_scc1 label_00A4                                  // 00000000B864: BF85DB0F

000000000000b868 <label_9468>:
	s_waitcnt vmcnt(0) expcnt(0) lgkmcnt(0)                    // 00000000B868: BF8C0000
	s_endpgm                                                   // 00000000B86C: BF810000
